;; amdgpu-corpus repo=ROCm/rocFFT kind=compiled arch=gfx1201 opt=O3
	.text
	.amdgcn_target "amdgcn-amd-amdhsa--gfx1201"
	.amdhsa_code_object_version 6
	.protected	fft_rtc_back_len1521_factors_13_3_3_13_wgs_117_tpt_117_halfLds_sp_ip_CI_unitstride_sbrr_dirReg ; -- Begin function fft_rtc_back_len1521_factors_13_3_3_13_wgs_117_tpt_117_halfLds_sp_ip_CI_unitstride_sbrr_dirReg
	.globl	fft_rtc_back_len1521_factors_13_3_3_13_wgs_117_tpt_117_halfLds_sp_ip_CI_unitstride_sbrr_dirReg
	.p2align	8
	.type	fft_rtc_back_len1521_factors_13_3_3_13_wgs_117_tpt_117_halfLds_sp_ip_CI_unitstride_sbrr_dirReg,@function
fft_rtc_back_len1521_factors_13_3_3_13_wgs_117_tpt_117_halfLds_sp_ip_CI_unitstride_sbrr_dirReg: ; @fft_rtc_back_len1521_factors_13_3_3_13_wgs_117_tpt_117_halfLds_sp_ip_CI_unitstride_sbrr_dirReg
; %bb.0:
	s_clause 0x2
	s_load_b128 s[4:7], s[0:1], 0x0
	s_load_b64 s[8:9], s[0:1], 0x50
	s_load_b64 s[10:11], s[0:1], 0x18
	v_mul_u32_u24_e32 v1, 0x231, v0
	v_mov_b32_e32 v3, 0
	s_delay_alu instid0(VALU_DEP_2) | instskip(NEXT) | instid1(VALU_DEP_1)
	v_lshrrev_b32_e32 v1, 16, v1
	v_add_nc_u32_e32 v5, ttmp9, v1
	v_mov_b32_e32 v1, 0
	v_mov_b32_e32 v2, 0
	;; [unrolled: 1-line block ×3, first 2 shown]
	s_wait_kmcnt 0x0
	v_cmp_lt_u64_e64 s2, s[6:7], 2
	s_delay_alu instid0(VALU_DEP_1)
	s_and_b32 vcc_lo, exec_lo, s2
	s_cbranch_vccnz .LBB0_8
; %bb.1:
	s_load_b64 s[2:3], s[0:1], 0x10
	v_mov_b32_e32 v1, 0
	v_mov_b32_e32 v2, 0
	s_add_nc_u64 s[12:13], s[10:11], 8
	s_mov_b64 s[14:15], 1
	s_wait_kmcnt 0x0
	s_add_nc_u64 s[16:17], s[2:3], 8
	s_mov_b32 s3, 0
.LBB0_2:                                ; =>This Inner Loop Header: Depth=1
	s_load_b64 s[18:19], s[16:17], 0x0
                                        ; implicit-def: $vgpr7_vgpr8
	s_mov_b32 s2, exec_lo
	s_wait_kmcnt 0x0
	v_or_b32_e32 v4, s19, v6
	s_delay_alu instid0(VALU_DEP_1)
	v_cmpx_ne_u64_e32 0, v[3:4]
	s_wait_alu 0xfffe
	s_xor_b32 s20, exec_lo, s2
	s_cbranch_execz .LBB0_4
; %bb.3:                                ;   in Loop: Header=BB0_2 Depth=1
	s_cvt_f32_u32 s2, s18
	s_cvt_f32_u32 s21, s19
	s_sub_nc_u64 s[24:25], 0, s[18:19]
	s_wait_alu 0xfffe
	s_delay_alu instid0(SALU_CYCLE_1) | instskip(SKIP_1) | instid1(SALU_CYCLE_2)
	s_fmamk_f32 s2, s21, 0x4f800000, s2
	s_wait_alu 0xfffe
	v_s_rcp_f32 s2, s2
	s_delay_alu instid0(TRANS32_DEP_1) | instskip(SKIP_1) | instid1(SALU_CYCLE_2)
	s_mul_f32 s2, s2, 0x5f7ffffc
	s_wait_alu 0xfffe
	s_mul_f32 s21, s2, 0x2f800000
	s_wait_alu 0xfffe
	s_delay_alu instid0(SALU_CYCLE_2) | instskip(SKIP_1) | instid1(SALU_CYCLE_2)
	s_trunc_f32 s21, s21
	s_wait_alu 0xfffe
	s_fmamk_f32 s2, s21, 0xcf800000, s2
	s_cvt_u32_f32 s23, s21
	s_wait_alu 0xfffe
	s_delay_alu instid0(SALU_CYCLE_1) | instskip(SKIP_1) | instid1(SALU_CYCLE_2)
	s_cvt_u32_f32 s22, s2
	s_wait_alu 0xfffe
	s_mul_u64 s[26:27], s[24:25], s[22:23]
	s_wait_alu 0xfffe
	s_mul_hi_u32 s29, s22, s27
	s_mul_i32 s28, s22, s27
	s_mul_hi_u32 s2, s22, s26
	s_mul_i32 s30, s23, s26
	s_wait_alu 0xfffe
	s_add_nc_u64 s[28:29], s[2:3], s[28:29]
	s_mul_hi_u32 s21, s23, s26
	s_mul_hi_u32 s31, s23, s27
	s_add_co_u32 s2, s28, s30
	s_wait_alu 0xfffe
	s_add_co_ci_u32 s2, s29, s21
	s_mul_i32 s26, s23, s27
	s_add_co_ci_u32 s27, s31, 0
	s_wait_alu 0xfffe
	s_add_nc_u64 s[26:27], s[2:3], s[26:27]
	s_wait_alu 0xfffe
	v_add_co_u32 v4, s2, s22, s26
	s_delay_alu instid0(VALU_DEP_1) | instskip(SKIP_1) | instid1(VALU_DEP_1)
	s_cmp_lg_u32 s2, 0
	s_add_co_ci_u32 s23, s23, s27
	v_readfirstlane_b32 s22, v4
	s_wait_alu 0xfffe
	s_delay_alu instid0(VALU_DEP_1)
	s_mul_u64 s[24:25], s[24:25], s[22:23]
	s_wait_alu 0xfffe
	s_mul_hi_u32 s27, s22, s25
	s_mul_i32 s26, s22, s25
	s_mul_hi_u32 s2, s22, s24
	s_mul_i32 s28, s23, s24
	s_wait_alu 0xfffe
	s_add_nc_u64 s[26:27], s[2:3], s[26:27]
	s_mul_hi_u32 s21, s23, s24
	s_mul_hi_u32 s22, s23, s25
	s_wait_alu 0xfffe
	s_add_co_u32 s2, s26, s28
	s_add_co_ci_u32 s2, s27, s21
	s_mul_i32 s24, s23, s25
	s_add_co_ci_u32 s25, s22, 0
	s_wait_alu 0xfffe
	s_add_nc_u64 s[24:25], s[2:3], s[24:25]
	s_wait_alu 0xfffe
	v_add_co_u32 v4, s2, v4, s24
	s_delay_alu instid0(VALU_DEP_1) | instskip(SKIP_1) | instid1(VALU_DEP_1)
	s_cmp_lg_u32 s2, 0
	s_add_co_ci_u32 s2, s23, s25
	v_mul_hi_u32 v13, v5, v4
	s_wait_alu 0xfffe
	v_mad_co_u64_u32 v[7:8], null, v5, s2, 0
	v_mad_co_u64_u32 v[9:10], null, v6, v4, 0
	;; [unrolled: 1-line block ×3, first 2 shown]
	s_delay_alu instid0(VALU_DEP_3) | instskip(SKIP_1) | instid1(VALU_DEP_4)
	v_add_co_u32 v4, vcc_lo, v13, v7
	s_wait_alu 0xfffd
	v_add_co_ci_u32_e32 v7, vcc_lo, 0, v8, vcc_lo
	s_delay_alu instid0(VALU_DEP_2) | instskip(SKIP_1) | instid1(VALU_DEP_2)
	v_add_co_u32 v4, vcc_lo, v4, v9
	s_wait_alu 0xfffd
	v_add_co_ci_u32_e32 v4, vcc_lo, v7, v10, vcc_lo
	s_wait_alu 0xfffd
	v_add_co_ci_u32_e32 v7, vcc_lo, 0, v12, vcc_lo
	s_delay_alu instid0(VALU_DEP_2) | instskip(SKIP_1) | instid1(VALU_DEP_2)
	v_add_co_u32 v4, vcc_lo, v4, v11
	s_wait_alu 0xfffd
	v_add_co_ci_u32_e32 v9, vcc_lo, 0, v7, vcc_lo
	s_delay_alu instid0(VALU_DEP_2) | instskip(SKIP_1) | instid1(VALU_DEP_3)
	v_mul_lo_u32 v10, s19, v4
	v_mad_co_u64_u32 v[7:8], null, s18, v4, 0
	v_mul_lo_u32 v11, s18, v9
	s_delay_alu instid0(VALU_DEP_2) | instskip(NEXT) | instid1(VALU_DEP_2)
	v_sub_co_u32 v7, vcc_lo, v5, v7
	v_add3_u32 v8, v8, v11, v10
	s_delay_alu instid0(VALU_DEP_1) | instskip(SKIP_1) | instid1(VALU_DEP_1)
	v_sub_nc_u32_e32 v10, v6, v8
	s_wait_alu 0xfffd
	v_subrev_co_ci_u32_e64 v10, s2, s19, v10, vcc_lo
	v_add_co_u32 v11, s2, v4, 2
	s_wait_alu 0xf1ff
	v_add_co_ci_u32_e64 v12, s2, 0, v9, s2
	v_sub_co_u32 v13, s2, v7, s18
	v_sub_co_ci_u32_e32 v8, vcc_lo, v6, v8, vcc_lo
	s_wait_alu 0xf1ff
	v_subrev_co_ci_u32_e64 v10, s2, 0, v10, s2
	s_delay_alu instid0(VALU_DEP_3) | instskip(NEXT) | instid1(VALU_DEP_3)
	v_cmp_le_u32_e32 vcc_lo, s18, v13
	v_cmp_eq_u32_e64 s2, s19, v8
	s_wait_alu 0xfffd
	v_cndmask_b32_e64 v13, 0, -1, vcc_lo
	v_cmp_le_u32_e32 vcc_lo, s19, v10
	s_wait_alu 0xfffd
	v_cndmask_b32_e64 v14, 0, -1, vcc_lo
	v_cmp_le_u32_e32 vcc_lo, s18, v7
	;; [unrolled: 3-line block ×3, first 2 shown]
	s_wait_alu 0xfffd
	v_cndmask_b32_e64 v15, 0, -1, vcc_lo
	v_cmp_eq_u32_e32 vcc_lo, s19, v10
	s_wait_alu 0xf1ff
	s_delay_alu instid0(VALU_DEP_2)
	v_cndmask_b32_e64 v7, v15, v7, s2
	s_wait_alu 0xfffd
	v_cndmask_b32_e32 v10, v14, v13, vcc_lo
	v_add_co_u32 v13, vcc_lo, v4, 1
	s_wait_alu 0xfffd
	v_add_co_ci_u32_e32 v14, vcc_lo, 0, v9, vcc_lo
	s_delay_alu instid0(VALU_DEP_3) | instskip(SKIP_2) | instid1(VALU_DEP_3)
	v_cmp_ne_u32_e32 vcc_lo, 0, v10
	s_wait_alu 0xfffd
	v_cndmask_b32_e32 v10, v13, v11, vcc_lo
	v_cndmask_b32_e32 v8, v14, v12, vcc_lo
	v_cmp_ne_u32_e32 vcc_lo, 0, v7
	s_wait_alu 0xfffd
	s_delay_alu instid0(VALU_DEP_2)
	v_dual_cndmask_b32 v7, v4, v10 :: v_dual_cndmask_b32 v8, v9, v8
.LBB0_4:                                ;   in Loop: Header=BB0_2 Depth=1
	s_wait_alu 0xfffe
	s_and_not1_saveexec_b32 s2, s20
	s_cbranch_execz .LBB0_6
; %bb.5:                                ;   in Loop: Header=BB0_2 Depth=1
	v_cvt_f32_u32_e32 v4, s18
	s_sub_co_i32 s20, 0, s18
	s_delay_alu instid0(VALU_DEP_1) | instskip(NEXT) | instid1(TRANS32_DEP_1)
	v_rcp_iflag_f32_e32 v4, v4
	v_mul_f32_e32 v4, 0x4f7ffffe, v4
	s_delay_alu instid0(VALU_DEP_1) | instskip(SKIP_1) | instid1(VALU_DEP_1)
	v_cvt_u32_f32_e32 v4, v4
	s_wait_alu 0xfffe
	v_mul_lo_u32 v7, s20, v4
	s_delay_alu instid0(VALU_DEP_1) | instskip(NEXT) | instid1(VALU_DEP_1)
	v_mul_hi_u32 v7, v4, v7
	v_add_nc_u32_e32 v4, v4, v7
	s_delay_alu instid0(VALU_DEP_1) | instskip(NEXT) | instid1(VALU_DEP_1)
	v_mul_hi_u32 v4, v5, v4
	v_mul_lo_u32 v7, v4, s18
	v_add_nc_u32_e32 v8, 1, v4
	s_delay_alu instid0(VALU_DEP_2) | instskip(NEXT) | instid1(VALU_DEP_1)
	v_sub_nc_u32_e32 v7, v5, v7
	v_subrev_nc_u32_e32 v9, s18, v7
	v_cmp_le_u32_e32 vcc_lo, s18, v7
	s_wait_alu 0xfffd
	s_delay_alu instid0(VALU_DEP_2) | instskip(NEXT) | instid1(VALU_DEP_1)
	v_dual_cndmask_b32 v7, v7, v9 :: v_dual_cndmask_b32 v4, v4, v8
	v_cmp_le_u32_e32 vcc_lo, s18, v7
	s_delay_alu instid0(VALU_DEP_2) | instskip(SKIP_1) | instid1(VALU_DEP_1)
	v_add_nc_u32_e32 v8, 1, v4
	s_wait_alu 0xfffd
	v_dual_cndmask_b32 v7, v4, v8 :: v_dual_mov_b32 v8, v3
.LBB0_6:                                ;   in Loop: Header=BB0_2 Depth=1
	s_wait_alu 0xfffe
	s_or_b32 exec_lo, exec_lo, s2
	s_load_b64 s[20:21], s[12:13], 0x0
	s_delay_alu instid0(VALU_DEP_1)
	v_mul_lo_u32 v4, v8, s18
	v_mul_lo_u32 v11, v7, s19
	v_mad_co_u64_u32 v[9:10], null, v7, s18, 0
	s_add_nc_u64 s[14:15], s[14:15], 1
	s_add_nc_u64 s[12:13], s[12:13], 8
	s_wait_alu 0xfffe
	v_cmp_ge_u64_e64 s2, s[14:15], s[6:7]
	s_add_nc_u64 s[16:17], s[16:17], 8
	s_delay_alu instid0(VALU_DEP_2) | instskip(NEXT) | instid1(VALU_DEP_3)
	v_add3_u32 v4, v10, v11, v4
	v_sub_co_u32 v5, vcc_lo, v5, v9
	s_wait_alu 0xfffd
	s_delay_alu instid0(VALU_DEP_2) | instskip(SKIP_3) | instid1(VALU_DEP_2)
	v_sub_co_ci_u32_e32 v4, vcc_lo, v6, v4, vcc_lo
	s_and_b32 vcc_lo, exec_lo, s2
	s_wait_kmcnt 0x0
	v_mul_lo_u32 v6, s21, v5
	v_mul_lo_u32 v4, s20, v4
	v_mad_co_u64_u32 v[1:2], null, s20, v5, v[1:2]
	s_delay_alu instid0(VALU_DEP_1)
	v_add3_u32 v2, v6, v2, v4
	s_wait_alu 0xfffe
	s_cbranch_vccnz .LBB0_9
; %bb.7:                                ;   in Loop: Header=BB0_2 Depth=1
	v_dual_mov_b32 v5, v7 :: v_dual_mov_b32 v6, v8
	s_branch .LBB0_2
.LBB0_8:
	v_dual_mov_b32 v8, v6 :: v_dual_mov_b32 v7, v5
.LBB0_9:
	s_lshl_b64 s[2:3], s[6:7], 3
	v_mul_hi_u32 v3, 0x2302303, v0
	s_wait_alu 0xfffe
	s_add_nc_u64 s[2:3], s[10:11], s[2:3]
                                        ; implicit-def: $vgpr43
                                        ; implicit-def: $vgpr41
                                        ; implicit-def: $vgpr31
                                        ; implicit-def: $vgpr19
                                        ; implicit-def: $vgpr11
                                        ; implicit-def: $vgpr37
                                        ; implicit-def: $vgpr39
                                        ; implicit-def: $vgpr35
                                        ; implicit-def: $vgpr29
                                        ; implicit-def: $vgpr15
	s_load_b64 s[2:3], s[2:3], 0x0
	s_load_b64 s[0:1], s[0:1], 0x20
	s_wait_kmcnt 0x0
	v_mul_lo_u32 v4, s2, v8
	v_mul_lo_u32 v9, s3, v7
	v_mad_co_u64_u32 v[5:6], null, s2, v7, v[1:2]
	v_mul_u32_u24_e32 v1, 0x75, v3
	v_mov_b32_e32 v2, 0
	v_mov_b32_e32 v3, 0
	v_cmp_gt_u64_e32 vcc_lo, s[0:1], v[7:8]
                                        ; implicit-def: $vgpr7
	v_add3_u32 v6, v9, v6, v4
	v_sub_nc_u32_e32 v4, v0, v1
	s_delay_alu instid0(VALU_DEP_4) | instskip(NEXT) | instid1(VALU_DEP_3)
	v_dual_mov_b32 v33, v3 :: v_dual_mov_b32 v32, v2
                                        ; implicit-def: $vgpr9
	v_lshlrev_b64_e32 v[0:1], 3, v[5:6]
	s_and_saveexec_b32 s1, vcc_lo
; %bb.10:
	v_mov_b32_e32 v5, 0
	s_delay_alu instid0(VALU_DEP_2) | instskip(SKIP_1) | instid1(VALU_DEP_3)
	v_add_co_u32 v6, s0, s8, v0
	s_wait_alu 0xf1ff
	v_add_co_ci_u32_e64 v7, s0, s9, v1, s0
	s_delay_alu instid0(VALU_DEP_3) | instskip(NEXT) | instid1(VALU_DEP_1)
	v_lshlrev_b64_e32 v[2:3], 3, v[4:5]
	v_add_co_u32 v2, s0, v6, v2
	s_wait_alu 0xf1ff
	s_delay_alu instid0(VALU_DEP_2)
	v_add_co_ci_u32_e64 v3, s0, v7, v3, s0
	s_clause 0xc
	global_load_b64 v[32:33], v[2:3], off
	global_load_b64 v[42:43], v[2:3], off offset:936
	global_load_b64 v[40:41], v[2:3], off offset:1872
	;; [unrolled: 1-line block ×12, first 2 shown]
	v_dual_mov_b32 v2, v4 :: v_dual_mov_b32 v3, v5
; %bb.11:
	s_wait_alu 0xfffe
	s_or_b32 exec_lo, exec_lo, s1
	s_wait_loadcnt 0x0
	v_dual_add_f32 v5, v42, v32 :: v_dual_sub_f32 v12, v43, v37
	v_dual_add_f32 v13, v42, v36 :: v_dual_add_f32 v16, v40, v38
	v_sub_f32_e32 v17, v41, v39
	s_delay_alu instid0(VALU_DEP_3) | instskip(SKIP_1) | instid1(VALU_DEP_3)
	v_dual_add_f32 v5, v40, v5 :: v_dual_mul_f32 v22, 0xbf7e222b, v12
	v_mul_f32_e32 v20, 0xbeedf032, v12
	v_dual_mul_f32 v23, 0xbf6f5d39, v12 :: v_dual_mul_f32 v26, 0xbf6f5d39, v17
	s_delay_alu instid0(VALU_DEP_3) | instskip(SKIP_1) | instid1(VALU_DEP_3)
	v_dual_add_f32 v5, v30, v5 :: v_dual_mul_f32 v24, 0xbf29c268, v12
	v_cmp_gt_u32_e64 s0, 39, v4
	v_fmamk_f32 v48, v13, 0xbeb58ec6, v23
	v_fmamk_f32 v47, v13, 0x3df6dbef, v22
	s_delay_alu instid0(VALU_DEP_4) | instskip(SKIP_1) | instid1(VALU_DEP_4)
	v_add_f32_e32 v5, v18, v5
	v_fma_f32 v22, 0x3df6dbef, v13, -v22
	v_dual_fmamk_f32 v45, v13, 0x3f62ad3f, v20 :: v_dual_add_f32 v48, v48, v32
	s_delay_alu instid0(VALU_DEP_4) | instskip(SKIP_4) | instid1(VALU_DEP_4)
	v_add_f32_e32 v47, v47, v32
	v_mul_f32_e32 v21, 0xbf52af12, v12
	v_dual_mul_f32 v12, 0xbe750f2a, v12 :: v_dual_add_f32 v5, v10, v5
	v_fma_f32 v20, 0x3f62ad3f, v13, -v20
	v_mul_f32_e32 v25, 0xbf52af12, v17
	v_fmamk_f32 v46, v13, 0x3f116cb1, v21
	v_fma_f32 v21, 0x3f116cb1, v13, -v21
	v_dual_add_f32 v5, v6, v5 :: v_dual_fmamk_f32 v50, v13, 0xbf788fa5, v12
	s_delay_alu instid0(VALU_DEP_3) | instskip(SKIP_1) | instid1(VALU_DEP_3)
	v_dual_mul_f32 v27, 0xbe750f2a, v17 :: v_dual_add_f32 v46, v46, v32
	v_fma_f32 v23, 0xbeb58ec6, v13, -v23
	v_add_f32_e32 v5, v8, v5
	v_fmamk_f32 v49, v13, 0xbf3f9e67, v24
	v_fma_f32 v24, 0xbf3f9e67, v13, -v24
	v_fma_f32 v12, 0xbf788fa5, v13, -v12
	v_add_f32_e32 v20, v20, v32
	v_dual_fmamk_f32 v13, v16, 0x3f116cb1, v25 :: v_dual_add_f32 v50, v50, v32
	v_fma_f32 v25, 0x3f116cb1, v16, -v25
	s_delay_alu instid0(VALU_DEP_4) | instskip(SKIP_2) | instid1(VALU_DEP_4)
	v_dual_add_f32 v5, v14, v5 :: v_dual_add_f32 v12, v12, v32
	v_fmamk_f32 v51, v16, 0xbeb58ec6, v26
	v_fma_f32 v26, 0xbeb58ec6, v16, -v26
	v_add_f32_e32 v20, v25, v20
	v_add_f32_e32 v21, v21, v32
	;; [unrolled: 1-line block ×3, first 2 shown]
	v_dual_mul_f32 v44, 0x3f29c268, v17 :: v_dual_add_f32 v45, v45, v32
	v_add_f32_e32 v23, v23, v32
	s_delay_alu instid0(VALU_DEP_2)
	v_dual_add_f32 v24, v24, v32 :: v_dual_add_f32 v13, v13, v45
	v_mul_f32_e32 v45, 0x3f7e222b, v17
	v_mul_f32_e32 v17, 0x3eedf032, v17
	v_dual_add_f32 v49, v49, v32 :: v_dual_fmamk_f32 v32, v16, 0xbf788fa5, v27
	v_add_f32_e32 v21, v26, v21
	v_fma_f32 v26, 0xbf788fa5, v16, -v27
	s_delay_alu instid0(VALU_DEP_1) | instskip(SKIP_1) | instid1(VALU_DEP_2)
	v_dual_add_f32 v5, v28, v5 :: v_dual_add_f32 v22, v26, v22
	v_fmamk_f32 v27, v16, 0xbf3f9e67, v44
	v_add_f32_e32 v5, v34, v5
	v_fma_f32 v44, 0xbf3f9e67, v16, -v44
	s_delay_alu instid0(VALU_DEP_3) | instskip(NEXT) | instid1(VALU_DEP_3)
	v_add_f32_e32 v26, v27, v48
	v_dual_fmamk_f32 v48, v16, 0x3f62ad3f, v17 :: v_dual_add_f32 v5, v38, v5
	s_delay_alu instid0(VALU_DEP_1) | instskip(NEXT) | instid1(VALU_DEP_2)
	v_add_f32_e32 v48, v48, v50
	v_add_f32_e32 v25, v36, v5
	;; [unrolled: 1-line block ×3, first 2 shown]
	v_dual_add_f32 v46, v30, v34 :: v_dual_add_f32 v23, v44, v23
	v_fmamk_f32 v44, v16, 0x3df6dbef, v45
	v_add_f32_e32 v32, v32, v47
	v_sub_f32_e32 v27, v31, v35
	v_fma_f32 v45, 0x3df6dbef, v16, -v45
	v_fma_f32 v16, 0x3f62ad3f, v16, -v17
	s_delay_alu instid0(VALU_DEP_3) | instskip(NEXT) | instid1(VALU_DEP_3)
	v_dual_add_f32 v44, v44, v49 :: v_dual_mul_f32 v47, 0xbf7e222b, v27
	v_add_f32_e32 v17, v45, v24
	s_delay_alu instid0(VALU_DEP_3) | instskip(NEXT) | instid1(VALU_DEP_3)
	v_dual_mul_f32 v45, 0xbe750f2a, v27 :: v_dual_add_f32 v12, v16, v12
	v_fmamk_f32 v24, v46, 0x3df6dbef, v47
	v_fma_f32 v16, 0x3df6dbef, v46, -v47
	v_mul_f32_e32 v47, 0x3f6f5d39, v27
	s_delay_alu instid0(VALU_DEP_3) | instskip(SKIP_1) | instid1(VALU_DEP_4)
	v_dual_add_f32 v13, v24, v13 :: v_dual_fmamk_f32 v24, v46, 0xbf788fa5, v45
	v_fma_f32 v45, 0xbf788fa5, v46, -v45
	v_add_f32_e32 v16, v16, v20
	s_delay_alu instid0(VALU_DEP_3) | instskip(NEXT) | instid1(VALU_DEP_3)
	v_dual_add_f32 v5, v24, v5 :: v_dual_fmamk_f32 v24, v46, 0xbeb58ec6, v47
	v_add_f32_e32 v21, v45, v21
	v_fma_f32 v45, 0xbeb58ec6, v46, -v47
	s_delay_alu instid0(VALU_DEP_3) | instskip(SKIP_2) | instid1(VALU_DEP_2)
	v_add_f32_e32 v24, v24, v32
	v_mul_f32_e32 v20, 0x3eedf032, v27
	v_mul_f32_e32 v32, 0xbf52af12, v27
	v_dual_add_f32 v22, v45, v22 :: v_dual_fmamk_f32 v47, v46, 0x3f62ad3f, v20
	v_fma_f32 v20, 0x3f62ad3f, v46, -v20
	s_delay_alu instid0(VALU_DEP_3) | instskip(SKIP_1) | instid1(VALU_DEP_4)
	v_fmamk_f32 v45, v46, 0x3f116cb1, v32
	v_fma_f32 v32, 0x3f116cb1, v46, -v32
	v_add_f32_e32 v26, v47, v26
	s_delay_alu instid0(VALU_DEP_4) | instskip(SKIP_3) | instid1(VALU_DEP_4)
	v_dual_add_f32 v20, v20, v23 :: v_dual_sub_f32 v23, v19, v29
	v_mul_f32_e32 v27, 0xbf29c268, v27
	v_add_f32_e32 v47, v18, v28
	v_dual_add_f32 v44, v45, v44 :: v_dual_add_f32 v17, v32, v17
	v_mul_f32_e32 v49, 0xbf6f5d39, v23
	s_delay_alu instid0(VALU_DEP_4) | instskip(SKIP_2) | instid1(VALU_DEP_4)
	v_fmamk_f32 v45, v46, 0xbf3f9e67, v27
	v_fma_f32 v27, 0xbf3f9e67, v46, -v27
	v_mul_f32_e32 v46, 0x3f29c268, v23
	v_fmamk_f32 v32, v47, 0xbeb58ec6, v49
	s_delay_alu instid0(VALU_DEP_1) | instskip(SKIP_1) | instid1(VALU_DEP_4)
	v_dual_add_f32 v12, v27, v12 :: v_dual_add_f32 v13, v32, v13
	v_mul_f32_e32 v32, 0x3eedf032, v23
	v_fmamk_f32 v27, v47, 0xbf3f9e67, v46
	v_fma_f32 v46, 0xbf3f9e67, v47, -v46
	s_delay_alu instid0(VALU_DEP_2) | instskip(NEXT) | instid1(VALU_DEP_4)
	v_add_f32_e32 v5, v27, v5
	v_fmamk_f32 v27, v47, 0x3f62ad3f, v32
	v_fma_f32 v32, 0x3f62ad3f, v47, -v32
	s_delay_alu instid0(VALU_DEP_2) | instskip(NEXT) | instid1(VALU_DEP_2)
	v_add_f32_e32 v24, v27, v24
	v_add_f32_e32 v22, v32, v22
	v_dual_sub_f32 v32, v11, v15 :: v_dual_add_f32 v45, v45, v48
	v_fma_f32 v48, 0xbeb58ec6, v47, -v49
	v_mul_f32_e32 v27, 0x3e750f2a, v23
	s_delay_alu instid0(VALU_DEP_3) | instskip(NEXT) | instid1(VALU_DEP_3)
	v_mul_f32_e32 v49, 0xbf29c268, v32
	v_add_f32_e32 v16, v48, v16
	v_mul_f32_e32 v48, 0xbf7e222b, v23
	v_mul_f32_e32 v23, 0x3f52af12, v23
	s_delay_alu instid0(VALU_DEP_2) | instskip(NEXT) | instid1(VALU_DEP_2)
	v_dual_add_f32 v21, v46, v21 :: v_dual_fmamk_f32 v46, v47, 0x3df6dbef, v48
	v_fmamk_f32 v50, v47, 0x3f116cb1, v23
	v_fma_f32 v48, 0x3df6dbef, v47, -v48
	v_fma_f32 v23, 0x3f116cb1, v47, -v23
	s_delay_alu instid0(VALU_DEP_4) | instskip(NEXT) | instid1(VALU_DEP_3)
	v_add_f32_e32 v26, v46, v26
	v_add_f32_e32 v20, v48, v20
	v_add_f32_e32 v48, v10, v14
	s_delay_alu instid0(VALU_DEP_4) | instskip(SKIP_4) | instid1(VALU_DEP_3)
	v_add_f32_e32 v12, v23, v12
	v_fmamk_f32 v46, v47, 0xbf788fa5, v27
	v_fma_f32 v27, 0xbf788fa5, v47, -v27
	v_mul_f32_e32 v23, 0xbf52af12, v32
	v_fma_f32 v47, 0xbf3f9e67, v48, -v49
	v_dual_add_f32 v44, v46, v44 :: v_dual_add_f32 v17, v27, v17
	v_mul_f32_e32 v46, 0x3f7e222b, v32
	v_fmamk_f32 v27, v48, 0xbf3f9e67, v49
	v_fmamk_f32 v49, v48, 0x3f116cb1, v23
	v_fma_f32 v23, 0x3f116cb1, v48, -v23
	v_add_f32_e32 v16, v47, v16
	s_delay_alu instid0(VALU_DEP_2) | instskip(SKIP_4) | instid1(VALU_DEP_1)
	v_dual_add_f32 v22, v23, v22 :: v_dual_mul_f32 v47, 0x3e750f2a, v32
	v_mul_f32_e32 v23, 0x3eedf032, v32
	v_add_f32_e32 v13, v27, v13
	v_fmamk_f32 v27, v48, 0x3df6dbef, v46
	v_fma_f32 v46, 0x3df6dbef, v48, -v46
	v_add_f32_e32 v21, v46, v21
	v_fma_f32 v46, 0xbf788fa5, v48, -v47
	s_delay_alu instid0(VALU_DEP_1) | instskip(SKIP_2) | instid1(VALU_DEP_2)
	v_add_f32_e32 v20, v46, v20
	v_fmamk_f32 v46, v48, 0x3f62ad3f, v23
	v_fma_f32 v23, 0x3f62ad3f, v48, -v23
	v_dual_add_f32 v46, v46, v44 :: v_dual_add_f32 v5, v27, v5
	v_fmamk_f32 v27, v48, 0xbf788fa5, v47
	s_delay_alu instid0(VALU_DEP_1) | instskip(SKIP_1) | instid1(VALU_DEP_1)
	v_dual_add_f32 v45, v50, v45 :: v_dual_add_f32 v26, v27, v26
	v_dual_mul_f32 v27, 0xbf6f5d39, v32 :: v_dual_sub_f32 v32, v7, v9
	v_fmamk_f32 v47, v48, 0xbeb58ec6, v27
	v_fma_f32 v27, 0xbeb58ec6, v48, -v27
	s_delay_alu instid0(VALU_DEP_3) | instskip(NEXT) | instid1(VALU_DEP_2)
	v_mul_f32_e32 v50, 0xbe750f2a, v32
	v_add_f32_e32 v12, v27, v12
	v_add_f32_e32 v24, v49, v24
	v_add_f32_e32 v49, v6, v8
	v_add_f32_e32 v17, v23, v17
	v_mul_f32_e32 v27, 0xbf29c268, v32
	v_add_f32_e32 v23, v47, v45
	v_mul_f32_e32 v45, 0x3eedf032, v32
	v_fmamk_f32 v44, v49, 0xbf788fa5, v50
	v_fma_f32 v47, 0xbf788fa5, v49, -v50
	v_fmamk_f32 v50, v49, 0xbf3f9e67, v27
	s_delay_alu instid0(VALU_DEP_3) | instskip(SKIP_1) | instid1(VALU_DEP_4)
	v_dual_fmamk_f32 v48, v49, 0x3f62ad3f, v45 :: v_dual_add_f32 v13, v44, v13
	v_fma_f32 v45, 0x3f62ad3f, v49, -v45
	v_add_f32_e32 v44, v47, v16
	s_delay_alu instid0(VALU_DEP_3) | instskip(SKIP_1) | instid1(VALU_DEP_2)
	v_dual_mul_f32 v16, 0x3f52af12, v32 :: v_dual_add_f32 v47, v48, v5
	v_fma_f32 v5, 0xbf3f9e67, v49, -v27
	v_dual_add_f32 v24, v50, v24 :: v_dual_fmamk_f32 v27, v49, 0x3f116cb1, v16
	v_fma_f32 v16, 0x3f116cb1, v49, -v16
	v_add_f32_e32 v21, v45, v21
	v_mul_f32_e32 v45, 0xbf6f5d39, v32
	v_mul_f32_e32 v32, 0x3f7e222b, v32
	v_add_f32_e32 v22, v5, v22
	v_add_f32_e32 v16, v16, v20
	;; [unrolled: 1-line block ×3, first 2 shown]
	v_mad_u32_u24 v5, v4, 52, 0
	v_fmamk_f32 v27, v49, 0x3df6dbef, v32
	v_fma_f32 v32, 0x3df6dbef, v49, -v32
	v_fmamk_f32 v20, v49, 0xbeb58ec6, v45
	v_fma_f32 v45, 0xbeb58ec6, v49, -v45
	s_delay_alu instid0(VALU_DEP_3) | instskip(SKIP_1) | instid1(VALU_DEP_3)
	v_dual_add_f32 v23, v27, v23 :: v_dual_add_f32 v12, v32, v12
	v_mad_i32_i24 v32, 0xffffffd0, v4, v5
	v_dual_add_f32 v20, v20, v46 :: v_dual_add_f32 v17, v45, v17
                                        ; implicit-def: $vgpr45
                                        ; implicit-def: $vgpr46
	s_delay_alu instid0(VALU_DEP_2)
	v_add_nc_u32_e32 v48, 0xe00, v32
	ds_store_2addr_b32 v5, v25, v13 offset1:1
	ds_store_2addr_b32 v5, v47, v24 offset0:2 offset1:3
	ds_store_2addr_b32 v5, v26, v20 offset0:4 offset1:5
	;; [unrolled: 1-line block ×5, first 2 shown]
	ds_store_b32 v5, v44 offset:48
	v_add_nc_u32_e32 v47, 0x600, v32
	v_add_nc_u32_e32 v49, 0x200, v32
	;; [unrolled: 1-line block ×4, first 2 shown]
	global_wb scope:SCOPE_SE
	s_wait_dscnt 0x0
	s_barrier_signal -1
	s_barrier_wait -1
	global_inv scope:SCOPE_SE
	ds_load_2addr_b32 v[12:13], v32 offset1:117
	ds_load_2addr_b32 v[26:27], v47 offset0:123 offset1:240
	ds_load_2addr_b32 v[24:25], v48 offset0:118 offset1:235
	;; [unrolled: 1-line block ×5, first 2 shown]
	s_and_saveexec_b32 s1, s0
	s_cbranch_execz .LBB0_13
; %bb.12:
	ds_load_b32 v44, v32 offset:1872
	ds_load_b32 v46, v32 offset:3900
	;; [unrolled: 1-line block ×3, first 2 shown]
.LBB0_13:
	s_wait_alu 0xfffe
	s_or_b32 exec_lo, exec_lo, s1
	v_add_f32_e32 v52, v43, v33
	v_sub_f32_e32 v38, v40, v38
	v_sub_f32_e32 v36, v42, v36
	global_wb scope:SCOPE_SE
	s_wait_dscnt 0x0
	s_barrier_signal -1
	s_barrier_wait -1
	v_dual_mul_f32 v57, 0xbf6f5d39, v38 :: v_dual_add_f32 v42, v43, v37
	v_add_f32_e32 v43, v41, v39
	v_mul_f32_e32 v53, 0xbf7e222b, v36
	v_dual_add_f32 v40, v41, v52 :: v_dual_mul_f32 v59, 0x3f29c268, v38
	v_mul_f32_e32 v41, 0xbeedf032, v36
	s_delay_alu instid0(VALU_DEP_4) | instskip(NEXT) | instid1(VALU_DEP_4)
	v_fma_f32 v66, 0xbeb58ec6, v43, -v57
	v_fma_f32 v62, 0x3df6dbef, v42, -v53
	s_delay_alu instid0(VALU_DEP_4) | instskip(NEXT) | instid1(VALU_DEP_4)
	v_dual_add_f32 v40, v31, v40 :: v_dual_fmac_f32 v53, 0x3df6dbef, v42
	v_fma_f32 v60, 0x3f62ad3f, v42, -v41
	v_fmac_f32_e32 v41, 0x3f62ad3f, v42
	v_mul_f32_e32 v55, 0xbf29c268, v36
	s_delay_alu instid0(VALU_DEP_4)
	v_add_f32_e32 v40, v19, v40
	v_mul_f32_e32 v52, 0xbf52af12, v36
	v_add_f32_e32 v60, v60, v33
	v_add_f32_e32 v41, v41, v33
	v_fma_f32 v64, 0xbf3f9e67, v42, -v55
	v_dual_add_f32 v40, v11, v40 :: v_dual_fmac_f32 v55, 0xbf3f9e67, v42
	v_fmac_f32_e32 v57, 0xbeb58ec6, v43
	v_fma_f32 v61, 0x3f116cb1, v42, -v52
	v_mul_f32_e32 v54, 0xbf6f5d39, v36
	s_delay_alu instid0(VALU_DEP_4) | instskip(SKIP_1) | instid1(VALU_DEP_4)
	v_add_f32_e32 v40, v7, v40
	v_dual_mul_f32 v36, 0xbe750f2a, v36 :: v_dual_add_f32 v53, v53, v33
	v_add_f32_e32 v61, v61, v33
	s_delay_alu instid0(VALU_DEP_4) | instskip(NEXT) | instid1(VALU_DEP_4)
	v_fma_f32 v63, 0xbeb58ec6, v42, -v54
	v_add_f32_e32 v40, v9, v40
	v_mul_f32_e32 v56, 0xbf52af12, v38
	v_dual_mul_f32 v58, 0xbe750f2a, v38 :: v_dual_add_f32 v55, v55, v33
	v_fma_f32 v65, 0xbf788fa5, v42, -v36
	s_delay_alu instid0(VALU_DEP_4) | instskip(SKIP_2) | instid1(VALU_DEP_3)
	v_add_f32_e32 v40, v15, v40
	v_dual_add_f32 v62, v62, v33 :: v_dual_add_f32 v31, v31, v35
	v_dual_add_f32 v63, v63, v33 :: v_dual_sub_f32 v30, v30, v34
	v_add_f32_e32 v40, v29, v40
	global_inv scope:SCOPE_SE
	v_dual_add_f32 v19, v19, v29 :: v_dual_sub_f32 v18, v18, v28
	v_add_f32_e32 v11, v11, v15
	v_add_f32_e32 v40, v35, v40
	v_fmac_f32_e32 v52, 0x3f116cb1, v42
	v_mul_f32_e32 v35, 0xbf7e222b, v30
	v_dual_mul_f32 v29, 0xbf6f5d39, v18 :: v_dual_sub_f32 v6, v6, v8
	s_delay_alu instid0(VALU_DEP_3) | instskip(SKIP_3) | instid1(VALU_DEP_4)
	v_dual_add_f32 v39, v39, v40 :: v_dual_add_f32 v52, v52, v33
	v_fmac_f32_e32 v36, 0xbf788fa5, v42
	v_add_f32_e32 v40, v65, v33
	v_add_f32_e32 v7, v7, v9
	v_dual_add_f32 v37, v37, v39 :: v_dual_fmac_f32 v54, 0xbeb58ec6, v42
	v_fma_f32 v42, 0x3f116cb1, v43, -v56
	v_dual_fmac_f32 v56, 0x3f116cb1, v43 :: v_dual_add_f32 v39, v66, v61
	v_dual_add_f32 v52, v57, v52 :: v_dual_mul_f32 v57, 0x3f7e222b, v38
	s_delay_alu instid0(VALU_DEP_4) | instskip(NEXT) | instid1(VALU_DEP_3)
	v_add_f32_e32 v54, v54, v33
	v_add_f32_e32 v41, v56, v41
	v_fma_f32 v56, 0xbf3f9e67, v43, -v59
	v_fmac_f32_e32 v59, 0xbf3f9e67, v43
	v_fma_f32 v34, 0x3df6dbef, v43, -v57
	v_dual_fmac_f32 v57, 0x3df6dbef, v43 :: v_dual_add_f32 v64, v64, v33
	v_dual_add_f32 v33, v36, v33 :: v_dual_add_f32 v36, v42, v60
	v_fma_f32 v42, 0xbf788fa5, v43, -v58
	v_fmac_f32_e32 v58, 0xbf788fa5, v43
	s_delay_alu instid0(VALU_DEP_1) | instskip(NEXT) | instid1(VALU_DEP_1)
	v_dual_add_f32 v53, v58, v53 :: v_dual_mul_f32 v38, 0x3eedf032, v38
	v_fma_f32 v58, 0x3f62ad3f, v43, -v38
	v_fmac_f32_e32 v38, 0x3f62ad3f, v43
	v_add_f32_e32 v43, v57, v55
	v_fma_f32 v55, 0x3df6dbef, v31, -v35
	v_mul_f32_e32 v57, 0xbe750f2a, v30
	v_dual_fmac_f32 v35, 0x3df6dbef, v31 :: v_dual_add_f32 v42, v42, v62
	v_add_f32_e32 v34, v34, v64
	v_add_f32_e32 v33, v38, v33
	s_delay_alu instid0(VALU_DEP_4) | instskip(SKIP_3) | instid1(VALU_DEP_3)
	v_fma_f32 v38, 0xbf788fa5, v31, -v57
	v_fmac_f32_e32 v57, 0xbf788fa5, v31
	v_add_f32_e32 v35, v35, v41
	v_dual_mul_f32 v41, 0x3eedf032, v30 :: v_dual_add_f32 v36, v55, v36
	v_add_f32_e32 v52, v57, v52
	s_delay_alu instid0(VALU_DEP_2) | instskip(SKIP_4) | instid1(VALU_DEP_3)
	v_fma_f32 v57, 0x3f62ad3f, v31, -v41
	v_fmac_f32_e32 v41, 0x3f62ad3f, v31
	v_dual_add_f32 v56, v56, v63 :: v_dual_mul_f32 v55, 0x3f6f5d39, v30
	v_add_f32_e32 v38, v38, v39
	v_add_f32_e32 v54, v59, v54
	v_fma_f32 v39, 0xbeb58ec6, v31, -v55
	v_dual_fmac_f32 v55, 0xbeb58ec6, v31 :: v_dual_add_f32 v40, v58, v40
	s_delay_alu instid0(VALU_DEP_3) | instskip(NEXT) | instid1(VALU_DEP_3)
	v_add_f32_e32 v41, v41, v54
	v_add_f32_e32 v39, v39, v42
	s_delay_alu instid0(VALU_DEP_3) | instskip(SKIP_1) | instid1(VALU_DEP_2)
	v_dual_mul_f32 v42, 0xbf52af12, v30 :: v_dual_add_f32 v53, v55, v53
	v_add_f32_e32 v55, v57, v56
	v_fma_f32 v28, 0x3f116cb1, v31, -v42
	v_fmac_f32_e32 v42, 0x3f116cb1, v31
	v_mul_f32_e32 v30, 0xbf29c268, v30
	s_delay_alu instid0(VALU_DEP_3) | instskip(NEXT) | instid1(VALU_DEP_2)
	v_add_f32_e32 v28, v28, v34
	v_fma_f32 v34, 0xbf3f9e67, v31, -v30
	v_fmac_f32_e32 v30, 0xbf3f9e67, v31
	v_add_f32_e32 v31, v42, v43
	v_fma_f32 v42, 0xbeb58ec6, v19, -v29
	v_fmac_f32_e32 v29, 0xbeb58ec6, v19
	v_dual_mul_f32 v43, 0x3f29c268, v18 :: v_dual_add_f32 v34, v34, v40
	v_add_f32_e32 v30, v30, v33
	s_delay_alu instid0(VALU_DEP_4) | instskip(NEXT) | instid1(VALU_DEP_4)
	v_add_f32_e32 v33, v42, v36
	v_add_f32_e32 v29, v29, v35
	s_delay_alu instid0(VALU_DEP_4) | instskip(SKIP_1) | instid1(VALU_DEP_1)
	v_fma_f32 v36, 0xbf3f9e67, v19, -v43
	v_fmac_f32_e32 v43, 0xbf3f9e67, v19
	v_dual_mul_f32 v35, 0xbf7e222b, v18 :: v_dual_add_f32 v42, v43, v52
	s_delay_alu instid0(VALU_DEP_1) | instskip(SKIP_2) | instid1(VALU_DEP_3)
	v_fma_f32 v43, 0x3df6dbef, v19, -v35
	v_mul_f32_e32 v40, 0x3eedf032, v18
	v_dual_add_f32 v36, v36, v38 :: v_dual_fmac_f32 v35, 0x3df6dbef, v19
	v_add_f32_e32 v43, v43, v55
	s_delay_alu instid0(VALU_DEP_3) | instskip(NEXT) | instid1(VALU_DEP_3)
	v_fma_f32 v38, 0x3f62ad3f, v19, -v40
	v_dual_fmac_f32 v40, 0x3f62ad3f, v19 :: v_dual_add_f32 v35, v35, v41
	s_delay_alu instid0(VALU_DEP_2) | instskip(SKIP_2) | instid1(VALU_DEP_3)
	v_dual_add_f32 v38, v38, v39 :: v_dual_mul_f32 v39, 0x3e750f2a, v18
	v_sub_f32_e32 v10, v10, v14
	v_mul_f32_e32 v18, 0x3f52af12, v18
	v_fma_f32 v14, 0xbf788fa5, v19, -v39
	v_fmac_f32_e32 v39, 0xbf788fa5, v19
	s_delay_alu instid0(VALU_DEP_4) | instskip(SKIP_1) | instid1(VALU_DEP_4)
	v_mul_f32_e32 v15, 0xbf29c268, v10
	v_mul_f32_e32 v8, 0xbf6f5d39, v10
	v_add_f32_e32 v14, v14, v28
	v_fma_f32 v28, 0x3f116cb1, v19, -v18
	v_fmac_f32_e32 v18, 0x3f116cb1, v19
	v_fma_f32 v19, 0xbf3f9e67, v11, -v15
	v_fmac_f32_e32 v15, 0xbf3f9e67, v11
	s_delay_alu instid0(VALU_DEP_4) | instskip(SKIP_1) | instid1(VALU_DEP_3)
	v_dual_add_f32 v31, v39, v31 :: v_dual_add_f32 v28, v28, v34
	v_mul_f32_e32 v39, 0x3f7e222b, v10
	v_dual_add_f32 v18, v18, v30 :: v_dual_add_f32 v15, v15, v29
	v_add_f32_e32 v40, v40, v53
	v_add_f32_e32 v19, v19, v33
	s_delay_alu instid0(VALU_DEP_4) | instskip(SKIP_1) | instid1(VALU_DEP_2)
	v_fma_f32 v30, 0x3df6dbef, v11, -v39
	v_mul_f32_e32 v33, 0xbf52af12, v10
	v_dual_mul_f32 v29, 0x3e750f2a, v10 :: v_dual_add_f32 v34, v30, v36
	s_delay_alu instid0(VALU_DEP_2) | instskip(SKIP_1) | instid1(VALU_DEP_2)
	v_fma_f32 v30, 0x3f116cb1, v11, -v33
	v_fmac_f32_e32 v39, 0x3df6dbef, v11
	v_dual_fmac_f32 v33, 0x3f116cb1, v11 :: v_dual_add_f32 v38, v30, v38
	v_mul_f32_e32 v30, 0x3eedf032, v10
	s_delay_alu instid0(VALU_DEP_2) | instskip(SKIP_1) | instid1(VALU_DEP_3)
	v_dual_add_f32 v36, v39, v42 :: v_dual_add_f32 v33, v33, v40
	v_mul_f32_e32 v9, 0xbe750f2a, v6
	v_fma_f32 v10, 0x3f62ad3f, v11, -v30
	v_fmac_f32_e32 v30, 0x3f62ad3f, v11
	s_delay_alu instid0(VALU_DEP_2) | instskip(NEXT) | instid1(VALU_DEP_2)
	v_add_f32_e32 v10, v10, v14
	v_add_f32_e32 v14, v30, v31
	v_fma_f32 v39, 0xbf788fa5, v11, -v29
	v_fmac_f32_e32 v29, 0xbf788fa5, v11
	s_delay_alu instid0(VALU_DEP_2) | instskip(NEXT) | instid1(VALU_DEP_2)
	v_add_f32_e32 v39, v39, v43
	v_add_f32_e32 v29, v29, v35
	v_fma_f32 v35, 0xbeb58ec6, v11, -v8
	v_fmac_f32_e32 v8, 0xbeb58ec6, v11
	v_fma_f32 v11, 0xbf788fa5, v7, -v9
	v_fmac_f32_e32 v9, 0xbf788fa5, v7
	s_delay_alu instid0(VALU_DEP_4) | instskip(NEXT) | instid1(VALU_DEP_3)
	v_dual_mul_f32 v31, 0x3eedf032, v6 :: v_dual_add_f32 v28, v35, v28
	v_add_f32_e32 v11, v11, v19
	s_delay_alu instid0(VALU_DEP_3) | instskip(NEXT) | instid1(VALU_DEP_3)
	v_add_f32_e32 v30, v9, v15
	v_fma_f32 v19, 0x3f62ad3f, v7, -v31
	v_fmac_f32_e32 v31, 0x3f62ad3f, v7
	v_mul_f32_e32 v9, 0x3f52af12, v6
	s_delay_alu instid0(VALU_DEP_3) | instskip(NEXT) | instid1(VALU_DEP_3)
	v_add_f32_e32 v19, v19, v34
	v_add_f32_e32 v31, v31, v36
	s_delay_alu instid0(VALU_DEP_3) | instskip(SKIP_3) | instid1(VALU_DEP_2)
	v_fma_f32 v34, 0x3f116cb1, v7, -v9
	v_add_f32_e32 v8, v8, v18
	v_mul_f32_e32 v18, 0xbf29c268, v6
	v_fmac_f32_e32 v9, 0x3f116cb1, v7
	v_fma_f32 v15, 0xbf3f9e67, v7, -v18
	s_delay_alu instid0(VALU_DEP_1) | instskip(NEXT) | instid1(VALU_DEP_1)
	v_dual_fmac_f32 v18, 0xbf3f9e67, v7 :: v_dual_add_f32 v15, v15, v38
	v_add_f32_e32 v18, v18, v33
	v_add_f32_e32 v33, v34, v39
	v_mul_f32_e32 v35, 0xbf6f5d39, v6
	v_mul_f32_e32 v6, 0x3f7e222b, v6
	s_delay_alu instid0(VALU_DEP_1) | instskip(SKIP_1) | instid1(VALU_DEP_1)
	v_fma_f32 v36, 0x3df6dbef, v7, -v6
	v_fmac_f32_e32 v6, 0x3df6dbef, v7
	v_add_f32_e32 v6, v6, v8
	v_fma_f32 v34, 0xbeb58ec6, v7, -v35
	v_fmac_f32_e32 v35, 0xbeb58ec6, v7
	v_add_f32_e32 v7, v9, v29
	s_delay_alu instid0(VALU_DEP_3) | instskip(NEXT) | instid1(VALU_DEP_3)
	v_add_f32_e32 v9, v34, v10
	v_add_f32_e32 v10, v35, v14
	;; [unrolled: 1-line block ×3, first 2 shown]
	ds_store_2addr_b32 v5, v37, v11 offset1:1
	ds_store_2addr_b32 v5, v19, v15 offset0:2 offset1:3
	ds_store_2addr_b32 v5, v33, v9 offset0:4 offset1:5
	;; [unrolled: 1-line block ×5, first 2 shown]
	ds_store_b32 v5, v30 offset:48
	global_wb scope:SCOPE_SE
	s_wait_dscnt 0x0
	s_barrier_signal -1
	s_barrier_wait -1
	global_inv scope:SCOPE_SE
	ds_load_2addr_b32 v[14:15], v32 offset1:117
	ds_load_2addr_b32 v[28:29], v47 offset0:123 offset1:240
	ds_load_2addr_b32 v[18:19], v48 offset0:118 offset1:235
	;; [unrolled: 1-line block ×5, first 2 shown]
                                        ; implicit-def: $vgpr11
                                        ; implicit-def: $vgpr31
	s_and_saveexec_b32 s1, s0
	s_cbranch_execz .LBB0_15
; %bb.14:
	ds_load_b32 v30, v32 offset:1872
	ds_load_b32 v31, v32 offset:3900
	;; [unrolled: 1-line block ×3, first 2 shown]
.LBB0_15:
	s_wait_alu 0xfffe
	s_or_b32 exec_lo, exec_lo, s1
	v_and_b32_e32 v36, 0xff, v4
	v_add_nc_u16 v33, v4, 0x75
	s_delay_alu instid0(VALU_DEP_2) | instskip(NEXT) | instid1(VALU_DEP_1)
	v_mul_lo_u16 v34, 0x4f, v36
	v_lshrrev_b16 v39, 10, v34
	s_delay_alu instid0(VALU_DEP_1) | instskip(NEXT) | instid1(VALU_DEP_1)
	v_mul_lo_u16 v41, v39, 13
	v_sub_nc_u16 v48, v4, v41
	s_delay_alu instid0(VALU_DEP_1) | instskip(NEXT) | instid1(VALU_DEP_1)
	v_and_b32_e32 v48, 0xff, v48
	v_lshlrev_b32_e32 v53, 4, v48
	global_load_b128 v[53:56], v53, s[4:5]
	v_and_b32_e32 v38, 0xff, v33
	s_delay_alu instid0(VALU_DEP_1) | instskip(NEXT) | instid1(VALU_DEP_1)
	v_mul_lo_u16 v40, 0x4f, v38
	v_lshrrev_b16 v40, 10, v40
	s_delay_alu instid0(VALU_DEP_1) | instskip(NEXT) | instid1(VALU_DEP_1)
	v_mul_lo_u16 v50, v40, 13
	v_sub_nc_u16 v50, v33, v50
	s_delay_alu instid0(VALU_DEP_1) | instskip(NEXT) | instid1(VALU_DEP_1)
	v_and_b32_e32 v50, 0xff, v50
	v_lshlrev_b32_e32 v59, 4, v50
	global_load_b128 v[64:67], v59, s[4:5]
	v_add_nc_u32_e32 v35, 0xea, v4
	v_add_nc_u32_e32 v34, 0x15f, v4
	;; [unrolled: 1-line block ×3, first 2 shown]
	v_lshlrev_b32_e32 v48, 2, v48
	s_delay_alu instid0(VALU_DEP_4) | instskip(NEXT) | instid1(VALU_DEP_4)
	v_and_b32_e32 v42, 0xffff, v35
	v_and_b32_e32 v43, 0xffff, v34
	s_delay_alu instid0(VALU_DEP_2) | instskip(NEXT) | instid1(VALU_DEP_2)
	v_mul_u32_u24_e32 v47, 0x4ec5, v42
	v_mul_u32_u24_e32 v49, 0x4ec5, v43
	s_delay_alu instid0(VALU_DEP_2) | instskip(NEXT) | instid1(VALU_DEP_2)
	v_lshrrev_b32_e32 v47, 18, v47
	v_lshrrev_b32_e32 v49, 18, v49
	s_delay_alu instid0(VALU_DEP_2) | instskip(NEXT) | instid1(VALU_DEP_2)
	v_mul_lo_u16 v52, v47, 13
	v_mul_lo_u16 v57, v49, 13
	s_delay_alu instid0(VALU_DEP_2) | instskip(NEXT) | instid1(VALU_DEP_2)
	v_sub_nc_u16 v52, v35, v52
	v_sub_nc_u16 v57, v34, v57
	s_delay_alu instid0(VALU_DEP_2) | instskip(NEXT) | instid1(VALU_DEP_2)
	v_and_b32_e32 v52, 0xffff, v52
	v_and_b32_e32 v57, 0xffff, v57
	s_delay_alu instid0(VALU_DEP_2) | instskip(NEXT) | instid1(VALU_DEP_2)
	v_lshlrev_b32_e32 v60, 4, v52
	v_lshlrev_b32_e32 v59, 4, v57
	global_load_b128 v[68:71], v60, s[4:5]
	v_and_b32_e32 v41, 0xffff, v37
	v_and_b32_e32 v39, 0xffff, v39
	s_delay_alu instid0(VALU_DEP_2) | instskip(NEXT) | instid1(VALU_DEP_2)
	v_mul_u32_u24_e32 v51, 0x4ec5, v41
	v_mul_u32_u24_e32 v39, 0x9c, v39
	s_delay_alu instid0(VALU_DEP_2) | instskip(NEXT) | instid1(VALU_DEP_1)
	v_lshrrev_b32_e32 v51, 18, v51
	v_mul_lo_u16 v58, v51, 13
	s_delay_alu instid0(VALU_DEP_1) | instskip(NEXT) | instid1(VALU_DEP_1)
	v_sub_nc_u16 v58, v37, v58
	v_and_b32_e32 v58, 0xffff, v58
	s_delay_alu instid0(VALU_DEP_1)
	v_lshlrev_b32_e32 v60, 4, v58
	s_clause 0x1
	global_load_b128 v[72:75], v59, s[4:5]
	global_load_b128 v[76:79], v60, s[4:5]
	v_and_b32_e32 v40, 0xffff, v40
	v_mul_u32_u24_e32 v60, 0x9c, v49
	v_add3_u32 v49, 0, v39, v48
	v_lshlrev_b32_e32 v39, 2, v50
	v_mul_u32_u24_e32 v59, 0x9c, v47
	v_mul_u32_u24_e32 v40, 0x9c, v40
	v_mul_lo_u16 v47, v51, 39
	global_wb scope:SCOPE_SE
	s_wait_loadcnt_dscnt 0x0
	s_barrier_signal -1
	s_barrier_wait -1
	v_add3_u32 v51, 0, v40, v39
	global_inv scope:SCOPE_SE
	v_dual_mul_f32 v39, v26, v54 :: v_dual_mul_f32 v40, v24, v56
	s_delay_alu instid0(VALU_DEP_1) | instskip(SKIP_2) | instid1(VALU_DEP_1)
	v_fma_f32 v63, v28, v53, -v39
	v_lshlrev_b32_e32 v48, 2, v58
	v_mul_f32_e32 v58, v28, v54
	v_fmac_f32_e32 v58, v26, v53
	v_lshlrev_b32_e32 v50, 2, v52
	s_delay_alu instid0(VALU_DEP_1) | instskip(SKIP_1) | instid1(VALU_DEP_1)
	v_add3_u32 v50, 0, v59, v50
	v_mul_f32_e32 v59, v18, v56
	v_fmac_f32_e32 v59, v24, v55
	v_mul_f32_e32 v53, v29, v65
	v_mul_f32_e32 v39, v25, v67
	s_delay_alu instid0(VALU_DEP_2) | instskip(NEXT) | instid1(VALU_DEP_2)
	v_fmac_f32_e32 v53, v27, v64
	v_fma_f32 v61, v19, v66, -v39
	v_mul_f32_e32 v54, v7, v69
	v_mul_f32_e32 v56, v5, v71
	;; [unrolled: 1-line block ×3, first 2 shown]
	v_lshlrev_b32_e32 v52, 2, v57
	v_fma_f32 v57, v18, v55, -v40
	v_mul_f32_e32 v55, v19, v67
	v_mul_f32_e32 v67, v23, v73
	;; [unrolled: 1-line block ×3, first 2 shown]
	v_add3_u32 v52, 0, v60, v52
	v_dual_mul_f32 v60, v22, v69 :: v_dual_mul_f32 v69, v21, v75
	v_mul_f32_e32 v65, v20, v71
	v_mul_f32_e32 v24, v8, v73
	;; [unrolled: 1-line block ×3, first 2 shown]
	v_fmac_f32_e32 v55, v25, v66
	v_fma_f32 v27, v8, v72, -v67
	v_fma_f32 v25, v6, v74, -v69
	v_fmac_f32_e32 v54, v22, v68
	v_fma_f32 v64, v29, v64, -v18
	v_fma_f32 v62, v7, v68, -v60
	v_fma_f32 v60, v5, v70, -v65
	v_fma_f32 v29, v31, v76, -v71
	v_dual_add_f32 v5, v12, v58 :: v_dual_mul_f32 v26, v31, v77
	v_sub_f32_e32 v31, v27, v25
	v_dual_fmac_f32 v24, v23, v72 :: v_dual_add_f32 v19, v16, v54
	v_add_f32_e32 v6, v58, v59
	v_mul_f32_e32 v40, v11, v79
	v_sub_f32_e32 v7, v63, v57
	v_add_f32_e32 v8, v13, v53
	v_add_f32_e32 v5, v5, v59
	v_fma_f32 v6, -0.5, v6, v12
	v_add_f32_e32 v12, v53, v55
	v_dual_fmac_f32 v26, v46, v76 :: v_dual_mul_f32 v73, v45, v79
	v_fmac_f32_e32 v56, v20, v70
	s_delay_alu instid0(VALU_DEP_4) | instskip(NEXT) | instid1(VALU_DEP_4)
	v_fmamk_f32 v65, v7, 0xbf5db3d7, v6
	v_dual_fmac_f32 v40, v45, v78 :: v_dual_fmac_f32 v13, -0.5, v12
	v_fmac_f32_e32 v6, 0x3f5db3d7, v7
	v_dual_add_f32 v7, v8, v55 :: v_dual_fmac_f32 v28, v21, v74
	s_delay_alu instid0(VALU_DEP_3)
	v_add_f32_e32 v45, v26, v40
	v_fma_f32 v11, v11, v78, -v73
	v_sub_f32_e32 v21, v62, v60
	v_add_f32_e32 v39, v44, v26
	v_add_f32_e32 v23, v24, v28
	v_sub_f32_e32 v18, v64, v61
	v_add_f32_e32 v22, v17, v24
	s_delay_alu instid0(VALU_DEP_4) | instskip(NEXT) | instid1(VALU_DEP_4)
	v_dual_sub_f32 v46, v29, v11 :: v_dual_add_f32 v39, v39, v40
	v_dual_fmac_f32 v17, -0.5, v23 :: v_dual_add_f32 v20, v54, v56
	v_fmac_f32_e32 v44, -0.5, v45
	v_dual_add_f32 v8, v19, v56 :: v_dual_fmamk_f32 v19, v18, 0xbf5db3d7, v13
	v_fmac_f32_e32 v13, 0x3f5db3d7, v18
	s_delay_alu instid0(VALU_DEP_4) | instskip(NEXT) | instid1(VALU_DEP_4)
	v_fma_f32 v12, -0.5, v20, v16
	v_dual_fmamk_f32 v20, v31, 0xbf5db3d7, v17 :: v_dual_fmamk_f32 v45, v46, 0xbf5db3d7, v44
	v_fmac_f32_e32 v44, 0x3f5db3d7, v46
	v_add_f32_e32 v16, v22, v28
	s_delay_alu instid0(VALU_DEP_4)
	v_fmamk_f32 v18, v21, 0xbf5db3d7, v12
	v_dual_fmac_f32 v12, 0x3f5db3d7, v21 :: v_dual_fmac_f32 v17, 0x3f5db3d7, v31
	ds_store_2addr_b32 v49, v5, v65 offset1:13
	ds_store_b32 v49, v6 offset:104
	ds_store_2addr_b32 v51, v7, v19 offset1:13
	ds_store_b32 v51, v13 offset:104
	;; [unrolled: 2-line block ×4, first 2 shown]
	s_and_saveexec_b32 s1, s0
	s_cbranch_execz .LBB0_17
; %bb.16:
	v_and_b32_e32 v5, 0xffff, v47
	s_delay_alu instid0(VALU_DEP_1) | instskip(NEXT) | instid1(VALU_DEP_1)
	v_lshlrev_b32_e32 v5, 2, v5
	v_add3_u32 v5, 0, v48, v5
	ds_store_2addr_b32 v5, v39, v45 offset1:13
	ds_store_b32 v5, v44 offset:104
.LBB0_17:
	s_wait_alu 0xfffe
	s_or_b32 exec_lo, exec_lo, s1
	v_add_nc_u32_e32 v7, 0x600, v32
	v_add_nc_u32_e32 v8, 0xe00, v32
	;; [unrolled: 1-line block ×5, first 2 shown]
	global_wb scope:SCOPE_SE
	s_wait_dscnt 0x0
	s_barrier_signal -1
	s_barrier_wait -1
	global_inv scope:SCOPE_SE
	ds_load_2addr_b32 v[5:6], v32 offset1:117
	ds_load_2addr_b32 v[18:19], v7 offset0:123 offset1:240
	ds_load_2addr_b32 v[16:17], v8 offset0:118 offset1:235
	;; [unrolled: 1-line block ×5, first 2 shown]
	v_lshl_add_u32 v31, v4, 2, 0
	s_and_saveexec_b32 s1, s0
	s_cbranch_execz .LBB0_19
; %bb.18:
	ds_load_b32 v45, v32 offset:3900
	ds_load_b32 v39, v31 offset:1872
	ds_load_b32 v44, v32 offset:5928
.LBB0_19:
	s_wait_alu 0xfffe
	s_or_b32 exec_lo, exec_lo, s1
	v_dual_add_f32 v12, v63, v57 :: v_dual_add_f32 v13, v14, v63
	v_sub_f32_e32 v46, v58, v59
	v_dual_add_f32 v58, v64, v61 :: v_dual_add_f32 v59, v62, v60
	s_delay_alu instid0(VALU_DEP_3) | instskip(NEXT) | instid1(VALU_DEP_4)
	v_fma_f32 v12, -0.5, v12, v14
	v_dual_add_f32 v14, v15, v64 :: v_dual_add_f32 v13, v13, v57
	s_delay_alu instid0(VALU_DEP_3) | instskip(NEXT) | instid1(VALU_DEP_3)
	v_dual_fmac_f32 v15, -0.5, v58 :: v_dual_sub_f32 v24, v24, v28
	v_fmamk_f32 v57, v46, 0x3f5db3d7, v12
	v_fmac_f32_e32 v12, 0xbf5db3d7, v46
	v_sub_f32_e32 v46, v53, v55
	v_dual_add_f32 v14, v14, v61 :: v_dual_add_f32 v53, v9, v62
	v_fma_f32 v9, -0.5, v59, v9
	v_sub_f32_e32 v54, v54, v56
	s_delay_alu instid0(VALU_DEP_4)
	v_fmamk_f32 v55, v46, 0x3f5db3d7, v15
	v_dual_fmac_f32 v15, 0xbf5db3d7, v46 :: v_dual_add_f32 v46, v27, v25
	v_add_f32_e32 v27, v10, v27
	v_sub_f32_e32 v26, v26, v40
	v_add_f32_e32 v53, v53, v60
	global_wb scope:SCOPE_SE
	s_wait_dscnt 0x0
	v_fmac_f32_e32 v10, -0.5, v46
	v_dual_fmamk_f32 v56, v54, 0x3f5db3d7, v9 :: v_dual_add_f32 v25, v27, v25
	v_dual_fmac_f32 v9, 0xbf5db3d7, v54 :: v_dual_add_f32 v54, v29, v11
	s_delay_alu instid0(VALU_DEP_3) | instskip(SKIP_2) | instid1(VALU_DEP_3)
	v_dual_add_f32 v28, v30, v29 :: v_dual_fmamk_f32 v27, v24, 0x3f5db3d7, v10
	v_fmac_f32_e32 v10, 0xbf5db3d7, v24
	s_barrier_signal -1
	v_fmac_f32_e32 v30, -0.5, v54
	s_delay_alu instid0(VALU_DEP_3)
	v_add_f32_e32 v40, v28, v11
	s_barrier_wait -1
	global_inv scope:SCOPE_SE
	ds_store_2addr_b32 v49, v13, v57 offset1:13
	ds_store_b32 v49, v12 offset:104
	ds_store_2addr_b32 v51, v14, v55 offset1:13
	ds_store_b32 v51, v15 offset:104
	;; [unrolled: 2-line block ×4, first 2 shown]
	v_fmamk_f32 v46, v26, 0x3f5db3d7, v30
	v_fmac_f32_e32 v30, 0xbf5db3d7, v26
	s_and_saveexec_b32 s1, s0
	s_cbranch_execz .LBB0_21
; %bb.20:
	v_and_b32_e32 v9, 0xffff, v47
	s_delay_alu instid0(VALU_DEP_1) | instskip(NEXT) | instid1(VALU_DEP_1)
	v_lshlrev_b32_e32 v9, 2, v9
	v_add3_u32 v9, 0, v48, v9
	ds_store_2addr_b32 v9, v40, v46 offset1:13
	ds_store_b32 v9, v30 offset:104
.LBB0_21:
	s_wait_alu 0xfffe
	s_or_b32 exec_lo, exec_lo, s1
	v_add_nc_u32_e32 v11, 0x600, v32
	v_add_nc_u32_e32 v12, 0xe00, v32
	;; [unrolled: 1-line block ×5, first 2 shown]
	global_wb scope:SCOPE_SE
	s_wait_dscnt 0x0
	s_barrier_signal -1
	s_barrier_wait -1
	global_inv scope:SCOPE_SE
	ds_load_2addr_b32 v[9:10], v32 offset1:117
	ds_load_2addr_b32 v[24:25], v11 offset0:123 offset1:240
	ds_load_2addr_b32 v[13:14], v12 offset0:118 offset1:235
	;; [unrolled: 1-line block ×5, first 2 shown]
	s_and_saveexec_b32 s1, s0
	s_cbranch_execz .LBB0_23
; %bb.22:
	ds_load_b32 v46, v32 offset:3900
	ds_load_b32 v40, v31 offset:1872
	ds_load_b32 v30, v32 offset:5928
.LBB0_23:
	s_wait_alu 0xfffe
	s_or_b32 exec_lo, exec_lo, s1
	v_mul_u32_u24_e32 v41, 0xa41b, v41
	v_mul_u32_u24_e32 v15, 0xa41b, v42
	;; [unrolled: 1-line block ×3, first 2 shown]
	v_mul_lo_u16 v38, 0xa5, v38
	v_mul_lo_u16 v36, 0xa5, v36
	v_lshrrev_b32_e32 v41, 16, v41
	v_lshrrev_b32_e32 v15, 16, v15
	;; [unrolled: 1-line block ×3, first 2 shown]
	v_lshrrev_b16 v38, 8, v38
	v_lshrrev_b16 v36, 8, v36
	v_sub_nc_u16 v48, v37, v41
	v_sub_nc_u16 v43, v35, v15
	;; [unrolled: 1-line block ×3, first 2 shown]
	s_delay_alu instid0(VALU_DEP_3) | instskip(NEXT) | instid1(VALU_DEP_3)
	v_lshrrev_b16 v48, 1, v48
	v_lshrrev_b16 v43, 1, v43
	s_delay_alu instid0(VALU_DEP_3) | instskip(NEXT) | instid1(VALU_DEP_3)
	v_lshrrev_b16 v47, 1, v47
	v_add_nc_u16 v41, v48, v41
	s_delay_alu instid0(VALU_DEP_3) | instskip(NEXT) | instid1(VALU_DEP_3)
	v_add_nc_u16 v15, v43, v15
	v_add_nc_u16 v42, v47, v42
	v_sub_nc_u16 v47, v33, v38
	v_sub_nc_u16 v43, v4, v36
	v_lshrrev_b16 v41, 5, v41
	v_lshrrev_b16 v15, 5, v15
	;; [unrolled: 1-line block ×5, first 2 shown]
	v_mul_lo_u16 v41, v41, 39
	v_mul_lo_u16 v48, v15, 39
	;; [unrolled: 1-line block ×3, first 2 shown]
	v_and_b32_e32 v47, 0x7f, v47
	v_and_b32_e32 v43, 0x7f, v43
	v_sub_nc_u16 v37, v37, v41
	v_sub_nc_u16 v35, v35, v48
	;; [unrolled: 1-line block ×3, first 2 shown]
	v_add_nc_u16 v38, v47, v38
	v_add_nc_u16 v36, v43, v36
	v_and_b32_e32 v37, 0xffff, v37
	v_and_b32_e32 v35, 0xffff, v35
	s_delay_alu instid0(VALU_DEP_4) | instskip(NEXT) | instid1(VALU_DEP_4)
	v_lshrrev_b16 v38, 5, v38
	v_lshrrev_b16 v36, 5, v36
	s_delay_alu instid0(VALU_DEP_4) | instskip(SKIP_4) | instid1(VALU_DEP_1)
	v_lshlrev_b32_e32 v47, 4, v37
	global_load_b128 v[56:59], v47, s[4:5] offset:208
	v_lshlrev_b32_e32 v41, 4, v35
	global_load_b128 v[48:51], v41, s[4:5] offset:208
	v_and_b32_e32 v34, 0xffff, v34
	v_lshlrev_b32_e32 v43, 4, v34
	global_load_b128 v[52:55], v43, s[4:5] offset:208
	v_and_b32_e32 v36, 7, v36
	v_and_b32_e32 v38, 7, v38
	v_lshlrev_b32_e32 v34, 2, v34
	s_delay_alu instid0(VALU_DEP_3) | instskip(NEXT) | instid1(VALU_DEP_3)
	v_mul_lo_u16 v41, v36, 39
	v_mul_lo_u16 v43, v38, 39
	v_and_b32_e32 v36, 0xffff, v36
	s_delay_alu instid0(VALU_DEP_3) | instskip(NEXT) | instid1(VALU_DEP_3)
	v_sub_nc_u16 v41, v4, v41
	v_sub_nc_u16 v33, v33, v43
	s_delay_alu instid0(VALU_DEP_2) | instskip(NEXT) | instid1(VALU_DEP_2)
	v_and_b32_e32 v41, 0xff, v41
	v_and_b32_e32 v43, 0xff, v33
	s_delay_alu instid0(VALU_DEP_2) | instskip(NEXT) | instid1(VALU_DEP_2)
	v_lshlrev_b32_e32 v33, 4, v41
	v_lshlrev_b32_e32 v47, 4, v43
	s_clause 0x1
	global_load_b128 v[60:63], v33, s[4:5] offset:208
	global_load_b128 v[64:67], v47, s[4:5] offset:208
	v_and_b32_e32 v33, 0xffff, v42
	v_and_b32_e32 v15, 0xffff, v15
	global_wb scope:SCOPE_SE
	s_wait_loadcnt_dscnt 0x0
	s_barrier_signal -1
	s_barrier_wait -1
	v_mul_u32_u24_e32 v42, 0x1d4, v33
	v_mul_u32_u24_e32 v15, 0x1d4, v15
	v_lshl_add_u32 v33, v37, 2, 0
	global_inv scope:SCOPE_SE
	v_add3_u32 v34, 0, v42, v34
	v_mul_f32_e32 v47, v26, v51
	v_mul_f32_e32 v51, v20, v51
	v_mul_u32_u24_e32 v36, 0x1d4, v36
	v_and_b32_e32 v38, 0xffff, v38
	s_delay_alu instid0(VALU_DEP_4) | instskip(SKIP_1) | instid1(VALU_DEP_3)
	v_dual_fmac_f32 v47, v20, v50 :: v_dual_mul_f32 v42, v29, v53
	v_mul_f32_e32 v53, v23, v53
	v_mul_u32_u24_e32 v38, 0x1d4, v38
	s_delay_alu instid0(VALU_DEP_3) | instskip(NEXT) | instid1(VALU_DEP_3)
	v_dual_fmac_f32 v42, v23, v52 :: v_dual_lshlrev_b32 v35, 2, v35
	v_fma_f32 v20, v29, v52, -v53
	s_delay_alu instid0(VALU_DEP_2) | instskip(NEXT) | instid1(VALU_DEP_3)
	v_add_f32_e32 v53, v8, v42
	v_add3_u32 v35, 0, v15, v35
	v_lshlrev_b32_e32 v15, 2, v41
	s_delay_alu instid0(VALU_DEP_1) | instskip(SKIP_4) | instid1(VALU_DEP_4)
	v_add3_u32 v41, 0, v36, v15
	v_mul_f32_e32 v15, v28, v49
	v_mul_f32_e32 v49, v22, v49
	;; [unrolled: 1-line block ×4, first 2 shown]
	v_fmac_f32_e32 v15, v22, v48
	s_delay_alu instid0(VALU_DEP_4)
	v_fma_f32 v22, v28, v48, -v49
	v_fma_f32 v28, v26, v50, -v51
	v_mul_f32_e32 v29, v14, v67
	v_fma_f32 v26, v46, v56, -v57
	v_add_f32_e32 v51, v15, v47
	v_add_f32_e32 v50, v7, v15
	v_dual_sub_f32 v52, v22, v28 :: v_dual_lshlrev_b32 v37, 2, v43
	v_mul_f32_e32 v43, v27, v55
	s_delay_alu instid0(VALU_DEP_4)
	v_fma_f32 v7, -0.5, v51, v7
	v_mul_f32_e32 v55, v21, v55
	v_mul_f32_e32 v46, v16, v63
	v_add3_u32 v38, 0, v38, v37
	v_fmac_f32_e32 v43, v21, v54
	v_mul_f32_e32 v21, v25, v65
	v_fmac_f32_e32 v29, v17, v66
	v_dual_fmac_f32 v36, v45, v56 :: v_dual_mul_f32 v45, v18, v61
	v_mul_f32_e32 v48, v19, v65
	s_delay_alu instid0(VALU_DEP_4) | instskip(SKIP_4) | instid1(VALU_DEP_4)
	v_fmac_f32_e32 v21, v19, v64
	v_mul_f32_e32 v37, v30, v59
	v_mul_f32_e32 v59, v44, v59
	;; [unrolled: 1-line block ×3, first 2 shown]
	v_dual_add_f32 v17, v50, v47 :: v_dual_fmamk_f32 v50, v52, 0xbf5db3d7, v7
	v_dual_fmac_f32 v37, v44, v58 :: v_dual_mul_f32 v44, v13, v63
	v_fma_f32 v13, v13, v62, -v46
	v_add_f32_e32 v46, v6, v21
	v_fma_f32 v14, v14, v66, -v49
	v_fma_f32 v27, v27, v54, -v55
	v_fmac_f32_e32 v44, v16, v62
	v_fma_f32 v16, v25, v64, -v48
	v_add_f32_e32 v46, v46, v29
	v_fma_f32 v23, v30, v58, -v59
	v_mul_f32_e32 v30, v24, v61
	s_delay_alu instid0(VALU_DEP_4) | instskip(SKIP_2) | instid1(VALU_DEP_4)
	v_dual_add_f32 v48, v21, v29 :: v_dual_sub_f32 v49, v16, v14
	v_sub_f32_e32 v55, v20, v27
	v_fmac_f32_e32 v7, 0x3f5db3d7, v52
	v_fmac_f32_e32 v30, v18, v60
	v_fma_f32 v18, v24, v60, -v45
	v_fmac_f32_e32 v6, -0.5, v48
	s_delay_alu instid0(VALU_DEP_3) | instskip(NEXT) | instid1(VALU_DEP_1)
	v_dual_add_f32 v24, v5, v30 :: v_dual_add_f32 v25, v30, v44
	v_dual_sub_f32 v45, v18, v13 :: v_dual_add_f32 v24, v24, v44
	v_add_f32_e32 v54, v42, v43
	s_delay_alu instid0(VALU_DEP_3) | instskip(NEXT) | instid1(VALU_DEP_2)
	v_fma_f32 v5, -0.5, v25, v5
	v_dual_add_f32 v19, v53, v43 :: v_dual_fmac_f32 v8, -0.5, v54
	s_delay_alu instid0(VALU_DEP_2)
	v_fmamk_f32 v48, v45, 0xbf5db3d7, v5
	v_fmac_f32_e32 v5, 0x3f5db3d7, v45
	v_fmamk_f32 v45, v49, 0xbf5db3d7, v6
	v_fmac_f32_e32 v6, 0x3f5db3d7, v49
	;; [unrolled: 2-line block ×3, first 2 shown]
	ds_store_2addr_b32 v41, v24, v48 offset1:39
	ds_store_b32 v41, v5 offset:312
	ds_store_2addr_b32 v38, v46, v45 offset1:39
	ds_store_b32 v38, v6 offset:312
	;; [unrolled: 2-line block ×4, first 2 shown]
	s_and_saveexec_b32 s1, s0
	s_cbranch_execz .LBB0_25
; %bb.24:
	v_dual_add_f32 v5, v36, v37 :: v_dual_sub_f32 v6, v26, v23
	v_dual_add_f32 v7, v39, v36 :: v_dual_add_nc_u32 v8, 0x1400, v33
	s_delay_alu instid0(VALU_DEP_2) | instskip(NEXT) | instid1(VALU_DEP_2)
	v_fma_f32 v5, -0.5, v5, v39
	v_add_f32_e32 v7, v7, v37
	s_delay_alu instid0(VALU_DEP_2)
	v_fmamk_f32 v17, v6, 0x3f5db3d7, v5
	v_fmac_f32_e32 v5, 0xbf5db3d7, v6
	ds_store_2addr_b32 v8, v7, v5 offset0:124 offset1:163
	ds_store_b32 v33, v17 offset:5928
.LBB0_25:
	s_wait_alu 0xfffe
	s_or_b32 exec_lo, exec_lo, s1
	v_dual_add_f32 v5, v18, v13 :: v_dual_add_f32 v6, v9, v18
	v_dual_sub_f32 v7, v30, v44 :: v_dual_add_f32 v8, v16, v14
	v_dual_sub_f32 v39, v15, v47 :: v_dual_add_f32 v44, v12, v20
	s_delay_alu instid0(VALU_DEP_3) | instskip(SKIP_1) | instid1(VALU_DEP_4)
	v_fma_f32 v24, -0.5, v5, v9
	v_add_f32_e32 v5, v10, v16
	v_dual_sub_f32 v9, v21, v29 :: v_dual_fmac_f32 v10, -0.5, v8
	s_delay_alu instid0(VALU_DEP_3) | instskip(NEXT) | instid1(VALU_DEP_3)
	v_dual_add_f32 v25, v6, v13 :: v_dual_fmamk_f32 v8, v7, 0x3f5db3d7, v24
	v_dual_fmac_f32 v24, 0xbf5db3d7, v7 :: v_dual_add_f32 v7, v5, v14
	v_dual_add_f32 v5, v22, v28 :: v_dual_add_f32 v6, v20, v27
	s_delay_alu instid0(VALU_DEP_4) | instskip(SKIP_1) | instid1(VALU_DEP_3)
	v_dual_fmamk_f32 v29, v9, 0x3f5db3d7, v10 :: v_dual_add_f32 v30, v11, v22
	v_fmac_f32_e32 v10, 0xbf5db3d7, v9
	v_dual_fmac_f32 v12, -0.5, v6 :: v_dual_add_nc_u32 v9, 0x200, v32
	v_dual_sub_f32 v42, v42, v43 :: v_dual_add_nc_u32 v13, 0x800, v32
	v_dual_add_f32 v27, v44, v27 :: v_dual_add_nc_u32 v14, 0xc00, v32
	v_add_nc_u32_e32 v19, 0x1000, v32
	v_add_nc_u32_e32 v21, 0x1400, v32
	v_fma_f32 v11, -0.5, v5, v11
	global_wb scope:SCOPE_SE
	s_wait_dscnt 0x0
	s_barrier_signal -1
	s_barrier_wait -1
	global_inv scope:SCOPE_SE
	ds_load_2addr_b32 v[5:6], v32 offset1:117
	ds_load_2addr_b32 v[17:18], v9 offset0:106 offset1:223
	ds_load_b32 v9, v31 offset:1872
	ds_load_2addr_b32 v[15:16], v13 offset0:73 offset1:190
	ds_load_2addr_b32 v[13:14], v14 offset0:51 offset1:168
	ds_load_2addr_b32 v[19:20], v19 offset0:29 offset1:146
	ds_load_2addr_b32 v[21:22], v21 offset0:7 offset1:124
	v_add_f32_e32 v28, v30, v28
	v_fmamk_f32 v30, v39, 0x3f5db3d7, v11
	v_fmac_f32_e32 v11, 0xbf5db3d7, v39
	v_fmamk_f32 v39, v42, 0x3f5db3d7, v12
	v_fmac_f32_e32 v12, 0xbf5db3d7, v42
	global_wb scope:SCOPE_SE
	s_wait_dscnt 0x0
	s_barrier_signal -1
	s_barrier_wait -1
	global_inv scope:SCOPE_SE
	ds_store_2addr_b32 v41, v25, v8 offset1:39
	ds_store_b32 v41, v24 offset:312
	ds_store_2addr_b32 v38, v7, v29 offset1:39
	ds_store_b32 v38, v10 offset:312
	ds_store_2addr_b32 v35, v28, v30 offset1:39
	ds_store_b32 v35, v11 offset:312
	ds_store_2addr_b32 v34, v27, v39 offset1:39
	ds_store_b32 v34, v12 offset:312
	s_and_saveexec_b32 s1, s0
	s_cbranch_execz .LBB0_27
; %bb.26:
	v_dual_add_f32 v7, v26, v23 :: v_dual_add_f32 v8, v40, v26
	v_sub_f32_e32 v10, v36, v37
	s_delay_alu instid0(VALU_DEP_2) | instskip(NEXT) | instid1(VALU_DEP_1)
	v_dual_fmac_f32 v40, -0.5, v7 :: v_dual_add_nc_u32 v7, 0x1400, v33
	v_dual_add_f32 v8, v8, v23 :: v_dual_fmamk_f32 v11, v10, 0x3f5db3d7, v40
	v_fmamk_f32 v10, v10, 0xbf5db3d7, v40
	ds_store_2addr_b32 v7, v8, v11 offset0:124 offset1:163
	ds_store_b32 v33, v10 offset:5928
.LBB0_27:
	s_wait_alu 0xfffe
	s_or_b32 exec_lo, exec_lo, s1
	global_wb scope:SCOPE_SE
	s_wait_dscnt 0x0
	s_barrier_signal -1
	s_barrier_wait -1
	global_inv scope:SCOPE_SE
	s_and_saveexec_b32 s0, vcc_lo
	s_cbranch_execz .LBB0_29
; %bb.28:
	v_mul_u32_u24_e32 v4, 12, v4
	v_lshlrev_b64_e32 v[2:3], 3, v[2:3]
	v_add_co_u32 v0, vcc_lo, s8, v0
	s_wait_alu 0xfffd
	v_add_co_ci_u32_e32 v1, vcc_lo, s9, v1, vcc_lo
	v_lshlrev_b32_e32 v4, 3, v4
	s_delay_alu instid0(VALU_DEP_3) | instskip(SKIP_1) | instid1(VALU_DEP_3)
	v_add_co_u32 v0, vcc_lo, v0, v2
	s_wait_alu 0xfffd
	v_add_co_ci_u32_e32 v1, vcc_lo, v1, v3, vcc_lo
	s_clause 0x5
	global_load_b128 v[35:38], v4, s[4:5] offset:912
	global_load_b128 v[39:42], v4, s[4:5] offset:832
	;; [unrolled: 1-line block ×6, first 2 shown]
	v_add_nc_u32_e32 v4, 0x1400, v32
	v_add_nc_u32_e32 v12, 0x200, v32
	;; [unrolled: 1-line block ×3, first 2 shown]
	s_wait_loadcnt 0x4
	v_mul_f32_e32 v51, v17, v42
	ds_load_2addr_b32 v[7:8], v32 offset1:117
	ds_load_2addr_b32 v[10:11], v4 offset0:7 offset1:124
	v_add_nc_u32_e32 v4, 0x1000, v32
	ds_load_2addr_b32 v[60:61], v12 offset0:106 offset1:223
	ds_load_2addr_b32 v[62:63], v4 offset0:29 offset1:146
	ds_load_b32 v4, v31 offset:1872
	v_add_nc_u32_e32 v12, 0x800, v32
	v_mul_f32_e32 v31, v6, v40
	s_wait_dscnt 0x3
	v_mul_f32_e32 v25, v10, v36
	s_wait_dscnt 0x2
	v_mul_f32_e32 v73, v60, v42
	s_wait_loadcnt_dscnt 0x301
	v_mul_f32_e32 v26, v63, v46
	s_wait_loadcnt_dscnt 0x200
	v_mul_f32_e32 v33, v4, v50
	ds_load_2addr_b32 v[64:65], v12 offset0:73 offset1:190
	ds_load_2addr_b32 v[66:67], v23 offset0:51 offset1:168
	v_mul_f32_e32 v12, v22, v38
	v_dual_mul_f32 v23, v11, v38 :: v_dual_mul_f32 v38, v21, v36
	v_mul_f32_e32 v36, v20, v46
	v_dual_mul_f32 v42, v18, v48 :: v_dual_fmac_f32 v73, v17, v41
	s_delay_alu instid0(VALU_DEP_3)
	v_dual_mul_f32 v34, v61, v48 :: v_dual_fmac_f32 v23, v22, v37
	v_dual_mul_f32 v46, v19, v44 :: v_dual_fmac_f32 v25, v21, v35
	v_dual_mul_f32 v48, v9, v50 :: v_dual_mul_f32 v27, v62, v44
	v_mul_f32_e32 v40, v8, v40
	s_wait_loadcnt 0x1
	v_dual_mul_f32 v44, v14, v55 :: v_dual_fmac_f32 v33, v9, v49
	v_fma_f32 v60, v60, v41, -v51
	v_fmac_f32_e32 v34, v18, v47
	v_fma_f32 v18, v62, v43, -v46
	s_wait_loadcnt_dscnt 0x1
	v_dual_mul_f32 v32, v64, v57 :: v_dual_fmac_f32 v27, v19, v43
	s_wait_dscnt 0x0
	v_mul_f32_e32 v29, v66, v53
	v_dual_mul_f32 v68, v15, v57 :: v_dual_mul_f32 v57, v16, v59
	v_fma_f32 v22, v10, v35, -v38
	v_fma_f32 v50, v4, v49, -v48
	s_delay_alu instid0(VALU_DEP_4)
	v_dual_fmac_f32 v29, v13, v52 :: v_dual_mul_f32 v28, v67, v55
	v_mul_f32_e32 v55, v13, v53
	v_fma_f32 v24, v11, v37, -v12
	v_fma_f32 v53, v8, v39, -v31
	;; [unrolled: 1-line block ×4, first 2 shown]
	v_fmac_f32_e32 v26, v20, v45
	v_fma_f32 v19, v67, v54, -v44
	v_add_f32_e32 v67, v18, v50
	v_fma_f32 v36, v64, v56, -v68
	v_fmac_f32_e32 v40, v6, v39
	v_fmac_f32_e32 v32, v15, v56
	v_dual_sub_f32 v10, v73, v25 :: v_dual_sub_f32 v81, v60, v22
	v_add_f32_e32 v15, v25, v73
	v_dual_mul_f32 v30, v65, v59 :: v_dual_sub_f32 v9, v34, v26
	v_fma_f32 v20, v66, v52, -v55
	v_fma_f32 v31, v65, v58, -v57
	v_add_f32_e32 v57, v22, v60
	v_fmac_f32_e32 v28, v14, v54
	v_dual_fmac_f32 v30, v16, v58 :: v_dual_sub_f32 v75, v51, v21
	v_dual_add_f32 v54, v24, v53 :: v_dual_add_f32 v65, v19, v36
	v_sub_f32_e32 v58, v53, v24
	v_dual_sub_f32 v66, v36, v19 :: v_dual_mul_f32 v103, 0x3f7e222b, v81
	v_dual_add_f32 v56, v5, v40 :: v_dual_sub_f32 v17, v40, v23
	v_dual_sub_f32 v8, v33, v27 :: v_dual_add_f32 v55, v7, v53
	v_dual_add_f32 v59, v20, v31 :: v_dual_sub_f32 v68, v50, v18
	v_mul_f32_e32 v99, 0x3eedf032, v81
	v_dual_add_f32 v11, v29, v30 :: v_dual_sub_f32 v6, v32, v28
	v_mul_f32_e32 v97, 0xbf788fa5, v54
	v_mul_f32_e32 v69, 0xbeb58ec6, v65
	v_dual_mul_f32 v100, 0xbf3f9e67, v54 :: v_dual_mul_f32 v105, 0xbf3f9e67, v57
	v_mul_f32_e32 v85, 0x3eedf032, v66
	v_dual_mul_f32 v98, 0xbe750f2a, v58 :: v_dual_add_f32 v109, v56, v73
	v_dual_add_f32 v16, v23, v40 :: v_dual_mul_f32 v71, 0x3f116cb1, v67
	v_dual_add_f32 v14, v26, v34 :: v_dual_mul_f32 v61, 0x3df6dbef, v59
	v_dual_mul_f32 v89, 0x3e750f2a, v68 :: v_dual_fmamk_f32 v112, v17, 0x3e750f2a, v97
	v_mul_f32_e32 v106, 0xbf6f5d39, v58
	v_dual_mul_f32 v107, 0x3f29c268, v81 :: v_dual_add_f32 v108, v55, v60
	v_mul_f32_e32 v96, 0x3f62ad3f, v57
	v_dual_mul_f32 v93, 0x3eedf032, v75 :: v_dual_add_f32 v34, v109, v34
	v_dual_mul_f32 v80, 0xbf7e222b, v68 :: v_dual_mul_f32 v49, 0xbf7e222b, v58
	v_fmamk_f32 v117, v17, 0x3f29c268, v100
	v_mul_f32_e32 v102, 0xbf29c268, v58
	v_dual_add_f32 v72, v21, v51 :: v_dual_add_f32 v13, v27, v33
	v_sub_f32_e32 v4, v30, v29
	v_dual_mul_f32 v52, 0xbeb58ec6, v59 :: v_dual_add_f32 v33, v34, v33
	v_dual_mul_f32 v53, 0x3e750f2a, v66 :: v_dual_add_f32 v112, v7, v112
	v_dual_mul_f32 v46, 0xbe750f2a, v81 :: v_dual_mul_f32 v73, 0xbe750f2a, v75
	v_mul_f32_e32 v60, 0xbf52af12, v58
	v_mul_f32_e32 v55, 0xbf6f5d39, v81
	v_dual_add_f32 v51, v108, v51 :: v_dual_mul_f32 v58, 0xbeedf032, v58
	v_fmamk_f32 v113, v10, 0xbeedf032, v96
	v_fmamk_f32 v108, v16, 0xbeb58ec6, v106
	v_dual_fmamk_f32 v34, v16, 0x3df6dbef, v49 :: v_dual_add_f32 v117, v7, v117
	v_fmamk_f32 v119, v16, 0xbf3f9e67, v102
	v_dual_add_f32 v12, v28, v32 :: v_dual_mul_f32 v101, 0x3df6dbef, v57
	v_dual_sub_f32 v64, v31, v20 :: v_dual_mul_f32 v91, 0xbf52af12, v75
	v_mul_f32_e32 v83, 0xbf3f9e67, v72
	s_delay_alu instid0(VALU_DEP_4)
	v_dual_mul_f32 v88, 0x3f62ad3f, v72 :: v_dual_add_f32 v119, v5, v119
	v_dual_mul_f32 v41, 0x3eedf032, v68 :: v_dual_add_f32 v112, v112, v113
	;; [unrolled: 1-line block ×3, first 2 shown]
	v_fmamk_f32 v120, v15, 0x3df6dbef, v103
	v_mul_f32_e32 v56, 0x3f62ad3f, v54
	v_dual_fmamk_f32 v129, v4, 0xbf7e222b, v61 :: v_dual_add_f32 v32, v33, v32
	v_fmamk_f32 v113, v15, 0xbf788fa5, v46
	v_fmamk_f32 v33, v13, 0x3df6dbef, v80
	v_dual_mul_f32 v95, 0xbf3f9e67, v67 :: v_dual_add_f32 v34, v5, v34
	v_fmamk_f32 v115, v16, 0xbf788fa5, v98
	v_fma_f32 v98, 0xbf788fa5, v16, -v98
	v_fmamk_f32 v137, v15, 0xbf3f9e67, v107
	v_dual_mul_f32 v90, 0xbf29c268, v75 :: v_dual_mul_f32 v37, 0xbf29c268, v64
	v_dual_mul_f32 v44, 0x3f6f5d39, v75 :: v_dual_fmamk_f32 v125, v6, 0x3f6f5d39, v69
	v_dual_mul_f32 v75, 0xbf7e222b, v75 :: v_dual_fmamk_f32 v118, v10, 0xbf7e222b, v101
	v_dual_add_f32 v119, v119, v120 :: v_dual_add_f32 v98, v5, v98
	v_dual_mul_f32 v111, 0x3eedf032, v64 :: v_dual_add_f32 v108, v108, v137
	v_fma_f32 v103, 0x3df6dbef, v15, -v103
	v_fmac_f32_e32 v101, 0x3f7e222b, v10
	v_fmamk_f32 v137, v17, 0x3eedf032, v56
	v_dual_mul_f32 v84, 0x3f116cb1, v72 :: v_dual_mul_f32 v47, 0x3f116cb1, v59
	v_mul_f32_e32 v86, 0x3f52af12, v68
	v_mul_f32_e32 v104, 0xbeb58ec6, v54
	v_dual_mul_f32 v77, 0x3df6dbef, v67 :: v_dual_mul_f32 v48, 0x3df6dbef, v54
	v_dual_mul_f32 v92, 0x3f7e222b, v66 :: v_dual_add_f32 v137, v7, v137
	v_fmamk_f32 v116, v15, 0x3f62ad3f, v99
	v_fma_f32 v99, 0x3f62ad3f, v15, -v99
	v_fma_f32 v106, 0xbeb58ec6, v16, -v106
	v_dual_mul_f32 v78, 0x3f7e222b, v64 :: v_dual_fmamk_f32 v109, v17, 0x3f7e222b, v48
	v_dual_mul_f32 v76, 0xbf788fa5, v67 :: v_dual_mul_f32 v43, 0xbf788fa5, v57
	v_dual_mul_f32 v45, 0x3f52af12, v64 :: v_dual_add_f32 v50, v51, v50
	v_fmamk_f32 v123, v9, 0x3f52af12, v84
	v_fmamk_f32 v126, v13, 0x3f116cb1, v86
	v_dual_fmac_f32 v97, 0xbe750f2a, v17 :: v_dual_add_f32 v106, v5, v106
	v_fmac_f32_e32 v100, 0xbf29c268, v17
	v_add_f32_e32 v98, v98, v99
	v_add_f32_e32 v34, v34, v113
	v_dual_mul_f32 v70, 0x3f62ad3f, v65 :: v_dual_add_f32 v115, v5, v115
	v_mul_f32_e32 v40, 0x3f62ad3f, v67
	v_mul_f32_e32 v67, 0xbeb58ec6, v67
	v_dual_fmamk_f32 v135, v17, 0x3f6f5d39, v104 :: v_dual_add_f32 v100, v7, v100
	v_fma_f32 v107, 0xbf3f9e67, v15, -v107
	v_dual_mul_f32 v38, 0x3f116cb1, v65 :: v_dual_mul_f32 v63, 0x3f116cb1, v54
	s_delay_alu instid0(VALU_DEP_3)
	v_dual_mul_f32 v62, 0xbeb58ec6, v57 :: v_dual_add_f32 v135, v7, v135
	v_dual_fmamk_f32 v124, v14, 0x3f116cb1, v91 :: v_dual_add_f32 v97, v7, v97
	v_fmamk_f32 v136, v10, 0xbf29c268, v105
	v_mul_f32_e32 v54, 0x3f116cb1, v57
	v_mul_f32_e32 v57, 0xbf52af12, v81
	v_dual_mul_f32 v81, 0x3f29c268, v68 :: v_dual_fmamk_f32 v114, v9, 0x3f29c268, v83
	v_dual_mul_f32 v68, 0xbf6f5d39, v68 :: v_dual_add_f32 v109, v7, v109
	v_dual_fmamk_f32 v99, v12, 0xbf788fa5, v53 :: v_dual_add_f32 v106, v106, v107
	v_fmac_f32_e32 v96, 0x3eedf032, v10
	v_fmamk_f32 v51, v10, 0x3e750f2a, v43
	v_fma_f32 v102, 0xbf3f9e67, v16, -v102
	v_dual_add_f32 v135, v135, v136 :: v_dual_fmac_f32 v104, 0xbf6f5d39, v17
	s_delay_alu instid0(VALU_DEP_4) | instskip(NEXT) | instid1(VALU_DEP_4)
	v_dual_fmac_f32 v69, 0xbf6f5d39, v6 :: v_dual_add_f32 v96, v97, v96
	v_dual_mul_f32 v110, 0x3df6dbef, v65 :: v_dual_add_f32 v51, v109, v51
	s_delay_alu instid0(VALU_DEP_4) | instskip(SKIP_2) | instid1(VALU_DEP_3)
	v_dual_fmamk_f32 v109, v10, 0x3f52af12, v54 :: v_dual_add_f32 v102, v5, v102
	v_dual_mul_f32 v74, 0xbf788fa5, v65 :: v_dual_mul_f32 v87, 0xbf788fa5, v72
	v_dual_mul_f32 v42, 0xbeb58ec6, v72 :: v_dual_add_f32 v117, v117, v118
	v_dual_add_f32 v109, v137, v109 :: v_dual_fmamk_f32 v120, v16, 0x3f116cb1, v60
	v_dual_fmamk_f32 v137, v9, 0xbeedf032, v88 :: v_dual_add_f32 v104, v7, v104
	v_add_f32_e32 v102, v102, v103
	v_add_f32_e32 v100, v100, v101
	v_fmac_f32_e32 v84, 0xbf52af12, v9
	v_fmac_f32_e32 v105, 0x3f29c268, v10
	v_dual_add_f32 v115, v115, v116 :: v_dual_fmamk_f32 v116, v17, 0x3f52af12, v63
	v_dual_fmamk_f32 v136, v15, 0xbeb58ec6, v55 :: v_dual_fmamk_f32 v107, v14, 0xbeb58ec6, v44
	v_add_f32_e32 v120, v5, v120
	v_dual_add_f32 v84, v100, v84 :: v_dual_fmamk_f32 v97, v6, 0xbe750f2a, v74
	v_dual_add_f32 v104, v104, v105 :: v_dual_fmamk_f32 v105, v9, 0xbf6f5d39, v42
	v_add_f32_e32 v112, v112, v114
	v_dual_mul_f32 v94, 0x3f62ad3f, v59 :: v_dual_fmamk_f32 v113, v16, 0x3f62ad3f, v58
	v_dual_fmamk_f32 v131, v6, 0xbeedf032, v70 :: v_dual_add_f32 v120, v120, v136
	v_dual_fmamk_f32 v132, v12, 0x3f62ad3f, v85 :: v_dual_add_f32 v117, v117, v123
	v_fmamk_f32 v123, v6, 0x3f52af12, v38
	v_dual_mul_f32 v65, 0xbf3f9e67, v65 :: v_dual_add_f32 v116, v7, v116
	v_add_f32_e32 v51, v51, v105
	v_fmamk_f32 v105, v14, 0xbf788fa5, v73
	v_fmamk_f32 v118, v10, 0x3f6f5d39, v62
	v_dual_fmac_f32 v83, 0xbf29c268, v9 :: v_dual_add_f32 v30, v32, v30
	v_dual_mul_f32 v82, 0xbf6f5d39, v66 :: v_dual_mul_f32 v79, 0xbf6f5d39, v64
	v_dual_mul_f32 v66, 0xbf29c268, v66 :: v_dual_add_f32 v113, v5, v113
	v_add_f32_e32 v105, v120, v105
	v_add_f32_e32 v116, v116, v118
	v_dual_fmamk_f32 v120, v14, 0x3df6dbef, v75 :: v_dual_add_f32 v29, v29, v30
	v_fmamk_f32 v118, v15, 0x3f116cb1, v57
	v_dual_mul_f32 v72, 0x3df6dbef, v72 :: v_dual_fmamk_f32 v133, v11, 0x3df6dbef, v78
	v_dual_fmamk_f32 v101, v4, 0xbf52af12, v47 :: v_dual_add_f32 v34, v34, v107
	s_delay_alu instid0(VALU_DEP_3) | instskip(SKIP_3) | instid1(VALU_DEP_4)
	v_dual_add_f32 v113, v113, v118 :: v_dual_fmamk_f32 v118, v14, 0x3f62ad3f, v93
	v_add_f32_e32 v83, v96, v83
	v_fmamk_f32 v107, v11, 0xbf3f9e67, v37
	v_dual_fmamk_f32 v121, v8, 0xbf52af12, v71 :: v_dual_add_f32 v36, v50, v36
	v_add_f32_e32 v108, v108, v118
	v_fmamk_f32 v118, v9, 0x3e750f2a, v87
	v_fma_f32 v91, 0x3f116cb1, v14, -v91
	v_fmac_f32_e32 v61, 0x3f7e222b, v4
	v_dual_mul_f32 v35, 0xbf3f9e67, v59 :: v_dual_fmamk_f32 v122, v14, 0xbf3f9e67, v90
	v_add_f32_e32 v33, v108, v33
	v_add_f32_e32 v116, v116, v118
	v_fmamk_f32 v118, v9, 0x3f7e222b, v72
	v_dual_mul_f32 v59, 0xbf788fa5, v59 :: v_dual_fmamk_f32 v128, v13, 0xbf788fa5, v89
	v_dual_mul_f32 v64, 0xbe750f2a, v64 :: v_dual_fmamk_f32 v127, v8, 0xbe750f2a, v76
	s_delay_alu instid0(VALU_DEP_3)
	v_dual_add_f32 v109, v109, v118 :: v_dual_fmamk_f32 v118, v8, 0xbf29c268, v95
	v_dual_add_f32 v33, v33, v99 :: v_dual_fmamk_f32 v136, v11, 0xbeb58ec6, v79
	v_add_f32_e32 v31, v36, v31
	v_dual_fmamk_f32 v50, v8, 0x3f7e222b, v77 :: v_dual_add_f32 v91, v102, v91
	v_add_f32_e32 v135, v135, v137
	v_fma_f32 v90, 0xbf3f9e67, v14, -v90
	v_dual_fmac_f32 v71, 0x3f52af12, v8 :: v_dual_add_f32 v112, v112, v121
	v_dual_fmac_f32 v76, 0x3e750f2a, v8 :: v_dual_fmamk_f32 v121, v4, 0x3e750f2a, v59
	v_fma_f32 v89, 0xbf788fa5, v13, -v89
	v_dual_fmac_f32 v77, 0xbf7e222b, v8 :: v_dual_fmamk_f32 v96, v6, 0xbf7e222b, v110
	v_add_f32_e32 v108, v116, v118
	v_dual_fmamk_f32 v137, v4, 0x3f29c268, v35 :: v_dual_add_f32 v90, v98, v90
	v_add_f32_e32 v113, v113, v120
	v_fmamk_f32 v120, v13, 0xbf3f9e67, v81
	v_fma_f32 v86, 0x3f116cb1, v13, -v86
	v_fmac_f32_e32 v70, 0x3eedf032, v6
	v_dual_add_f32 v20, v20, v31 :: v_dual_fmac_f32 v47, 0x3f52af12, v4
	v_dual_add_f32 v30, v83, v71 :: v_dual_fmac_f32 v43, 0xbe750f2a, v10
	v_dual_add_f32 v71, v84, v76 :: v_dual_add_f32 v76, v91, v89
	v_dual_add_f32 v89, v108, v96 :: v_dual_add_f32 v50, v135, v50
	v_dual_fmamk_f32 v130, v12, 0xbeb58ec6, v82 :: v_dual_add_f32 v115, v115, v122
	v_dual_fmac_f32 v88, 0x3eedf032, v9 :: v_dual_add_f32 v31, v90, v86
	v_fma_f32 v82, 0xbeb58ec6, v12, -v82
	s_delay_alu instid0(VALU_DEP_4)
	v_add_f32_e32 v50, v50, v97
	v_dual_fmamk_f32 v134, v4, 0x3f6f5d39, v52 :: v_dual_add_f32 v119, v119, v124
	v_dual_fmamk_f32 v114, v8, 0xbeedf032, v40 :: v_dual_add_f32 v117, v117, v127
	v_add_f32_e32 v88, v104, v88
	v_dual_add_f32 v82, v31, v82 :: v_dual_fmac_f32 v95, 0x3f29c268, v8
	v_dual_add_f32 v31, v50, v101 :: v_dual_fmamk_f32 v32, v13, 0xbeb58ec6, v68
	s_delay_alu instid0(VALU_DEP_3)
	v_dual_add_f32 v77, v88, v77 :: v_dual_fmamk_f32 v122, v13, 0x3f62ad3f, v41
	v_dual_add_f32 v119, v119, v128 :: v_dual_fmamk_f32 v124, v12, 0x3f116cb1, v39
	v_add_f32_e32 v51, v51, v114
	v_fma_f32 v93, 0x3f62ad3f, v14, -v93
	v_fmamk_f32 v36, v8, 0x3f6f5d39, v67
	v_add_f32_e32 v32, v113, v32
	v_fmac_f32_e32 v48, 0xbf7e222b, v17
	v_add_f32_e32 v86, v117, v131
	v_fmamk_f32 v102, v12, 0xbf3f9e67, v66
	v_dual_fmamk_f32 v100, v6, 0x3f29c268, v65 :: v_dual_add_f32 v83, v112, v125
	v_add_f32_e32 v93, v106, v93
	v_fma_f32 v78, 0x3df6dbef, v11, -v78
	v_dual_add_f32 v88, v119, v132 :: v_dual_fmac_f32 v87, 0xbe750f2a, v9
	v_dual_add_f32 v51, v51, v123 :: v_dual_add_f32 v36, v109, v36
	v_fmac_f32_e32 v62, 0xbf6f5d39, v10
	v_dual_add_f32 v96, v28, v29 :: v_dual_add_f32 v29, v86, v134
	v_dual_fmamk_f32 v106, v11, 0x3f62ad3f, v111 :: v_dual_add_f32 v91, v32, v102
	v_add_f32_e32 v32, v19, v20
	v_fmamk_f32 v103, v11, 0x3f116cb1, v45
	v_dual_fmamk_f32 v104, v4, 0xbeedf032, v94 :: v_dual_add_f32 v115, v115, v126
	v_dual_add_f32 v70, v71, v70 :: v_dual_fmac_f32 v35, 0xbf29c268, v4
	s_delay_alu instid0(VALU_DEP_4)
	v_add_f32_e32 v18, v18, v32
	v_add_f32_e32 v50, v27, v96
	v_fmac_f32_e32 v94, 0x3eedf032, v4
	v_fmac_f32_e32 v42, 0x3f6f5d39, v9
	v_add_f32_e32 v36, v36, v100
	v_add_f32_e32 v34, v34, v122
	v_dual_fmamk_f32 v98, v12, 0x3df6dbef, v92 :: v_dual_add_f32 v69, v30, v69
	v_fmac_f32_e32 v52, 0xbf6f5d39, v4
	v_dual_add_f32 v84, v115, v130 :: v_dual_fmac_f32 v63, 0xbf52af12, v17
	v_fmac_f32_e32 v56, 0xbeedf032, v17
	v_dual_add_f32 v30, v33, v103 :: v_dual_add_f32 v33, v51, v137
	v_dual_add_f32 v51, v36, v121 :: v_dual_add_f32 v34, v34, v124
	v_fmac_f32_e32 v72, 0xbf7e222b, v9
	v_add_f32_e32 v18, v21, v18
	v_add_f32_e32 v21, v26, v50
	v_fma_f32 v80, 0x3df6dbef, v13, -v80
	v_add_f32_e32 v32, v34, v107
	v_fmac_f32_e32 v54, 0xbf52af12, v10
	v_add_f32_e32 v18, v22, v18
	v_add_f32_e32 v34, v25, v21
	v_dual_add_f32 v22, v69, v61 :: v_dual_add_f32 v25, v70, v52
	v_fma_f32 v45, 0x3f116cb1, v11, -v45
	s_delay_alu instid0(VALU_DEP_4) | instskip(NEXT) | instid1(VALU_DEP_4)
	v_add_f32_e32 v70, v24, v18
	v_dual_add_f32 v69, v23, v34 :: v_dual_add_f32 v18, v93, v80
	v_fmac_f32_e32 v65, 0xbf29c268, v6
	v_fma_f32 v23, 0xbf788fa5, v12, -v53
	v_fma_f32 v36, 0xbf788fa5, v15, -v46
	;; [unrolled: 1-line block ×4, first 2 shown]
	s_delay_alu instid0(VALU_DEP_4) | instskip(SKIP_1) | instid1(VALU_DEP_3)
	v_dual_add_f32 v105, v105, v120 :: v_dual_add_f32 v18, v18, v23
	v_fma_f32 v34, 0x3df6dbef, v16, -v49
	v_dual_fmac_f32 v74, 0x3e750f2a, v6 :: v_dual_add_f32 v71, v76, v85
	v_fma_f32 v79, 0xbeb58ec6, v11, -v79
	s_delay_alu instid0(VALU_DEP_4) | instskip(SKIP_3) | instid1(VALU_DEP_3)
	v_add_f32_e32 v46, v18, v45
	v_fma_f32 v18, 0x3f116cb1, v16, -v60
	v_fma_f32 v16, 0x3f62ad3f, v16, -v58
	v_dual_add_f32 v34, v5, v34 :: v_dual_fmac_f32 v59, 0xbe750f2a, v4
	v_dual_fmac_f32 v40, 0x3eedf032, v8 :: v_dual_add_f32 v17, v5, v18
	v_fma_f32 v18, 0xbeb58ec6, v15, -v55
	s_delay_alu instid0(VALU_DEP_4) | instskip(SKIP_1) | instid1(VALU_DEP_3)
	v_dual_add_f32 v5, v5, v16 :: v_dual_fmamk_f32 v126, v11, 0xbf788fa5, v64
	v_dual_add_f32 v19, v84, v133 :: v_dual_add_f32 v24, v71, v79
	v_add_f32_e32 v15, v17, v18
	s_delay_alu instid0(VALU_DEP_3) | instskip(SKIP_4) | instid1(VALU_DEP_4)
	v_add_f32_e32 v5, v5, v10
	v_add_f32_e32 v23, v7, v48
	v_fma_f32 v9, 0x3df6dbef, v14, -v75
	v_dual_fmac_f32 v67, 0xbf6f5d39, v8 :: v_dual_add_f32 v50, v91, v126
	v_fma_f32 v8, 0xbeb58ec6, v13, -v68
	v_add_f32_e32 v23, v23, v43
	s_delay_alu instid0(VALU_DEP_4) | instskip(SKIP_2) | instid1(VALU_DEP_4)
	v_add_f32_e32 v5, v5, v9
	v_add_f32_e32 v43, v7, v63
	v_dual_add_f32 v7, v7, v56 :: v_dual_fmac_f32 v38, 0xbf52af12, v6
	v_add_f32_e32 v23, v23, v42
	v_add_f32_e32 v90, v105, v98
	v_fmac_f32_e32 v110, 0x3f7e222b, v6
	s_delay_alu instid0(VALU_DEP_4) | instskip(SKIP_1) | instid1(VALU_DEP_4)
	v_add_f32_e32 v7, v7, v54
	v_add_f32_e32 v5, v5, v8
	v_dual_add_f32 v23, v23, v40 :: v_dual_add_f32 v26, v90, v106
	v_fma_f32 v6, 0xbf3f9e67, v12, -v66
	s_delay_alu instid0(VALU_DEP_4) | instskip(SKIP_1) | instid1(VALU_DEP_4)
	v_add_f32_e32 v7, v7, v72
	v_fma_f32 v16, 0xbf788fa5, v14, -v73
	v_dual_add_f32 v28, v88, v136 :: v_dual_add_f32 v23, v23, v38
	s_delay_alu instid0(VALU_DEP_3) | instskip(NEXT) | instid1(VALU_DEP_3)
	v_dual_add_f32 v4, v5, v6 :: v_dual_add_f32 v7, v7, v67
	v_add_f32_e32 v10, v15, v16
	v_fma_f32 v6, 0xbf788fa5, v11, -v64
	s_delay_alu instid0(VALU_DEP_4)
	v_add_f32_e32 v35, v23, v35
	v_add_f32_e32 v27, v89, v104
	v_dual_add_f32 v7, v7, v65 :: v_dual_add_f32 v34, v34, v36
	v_fma_f32 v36, 0xbeb58ec6, v14, -v44
	v_fma_f32 v14, 0xbf3f9e67, v13, -v81
	v_add_f32_e32 v21, v82, v78
	s_delay_alu instid0(VALU_DEP_4) | instskip(NEXT) | instid1(VALU_DEP_4)
	v_dual_add_f32 v5, v7, v59 :: v_dual_add_f32 v4, v4, v6
	v_add_f32_e32 v34, v34, v36
	v_fma_f32 v36, 0x3f62ad3f, v13, -v41
	v_add_f32_e32 v41, v43, v62
	v_add_f32_e32 v9, v10, v14
	v_fma_f32 v10, 0x3df6dbef, v12, -v92
	s_delay_alu instid0(VALU_DEP_4)
	v_add_f32_e32 v34, v34, v36
	v_fma_f32 v36, 0x3f116cb1, v12, -v39
	v_add_f32_e32 v39, v41, v87
	v_add_f32_e32 v74, v77, v74
	;; [unrolled: 1-line block ×3, first 2 shown]
	v_fma_f32 v9, 0x3f62ad3f, v11, -v111
	v_add_f32_e32 v34, v34, v36
	v_fma_f32 v36, 0xbf3f9e67, v11, -v37
	v_add_f32_e32 v37, v39, v95
	v_dual_add_f32 v20, v83, v129 :: v_dual_add_f32 v47, v74, v47
	v_add_f32_e32 v2, v8, v9
	s_delay_alu instid0(VALU_DEP_3) | instskip(NEXT) | instid1(VALU_DEP_1)
	v_dual_add_f32 v34, v34, v36 :: v_dual_add_f32 v23, v37, v110
	v_add_f32_e32 v3, v23, v94
	s_clause 0xc
	global_store_b64 v[0:1], v[69:70], off
	global_store_b64 v[0:1], v[50:51], off offset:936
	global_store_b64 v[0:1], v[26:27], off offset:1872
	;; [unrolled: 1-line block ×12, first 2 shown]
.LBB0_29:
	s_nop 0
	s_sendmsg sendmsg(MSG_DEALLOC_VGPRS)
	s_endpgm
	.section	.rodata,"a",@progbits
	.p2align	6, 0x0
	.amdhsa_kernel fft_rtc_back_len1521_factors_13_3_3_13_wgs_117_tpt_117_halfLds_sp_ip_CI_unitstride_sbrr_dirReg
		.amdhsa_group_segment_fixed_size 0
		.amdhsa_private_segment_fixed_size 0
		.amdhsa_kernarg_size 88
		.amdhsa_user_sgpr_count 2
		.amdhsa_user_sgpr_dispatch_ptr 0
		.amdhsa_user_sgpr_queue_ptr 0
		.amdhsa_user_sgpr_kernarg_segment_ptr 1
		.amdhsa_user_sgpr_dispatch_id 0
		.amdhsa_user_sgpr_private_segment_size 0
		.amdhsa_wavefront_size32 1
		.amdhsa_uses_dynamic_stack 0
		.amdhsa_enable_private_segment 0
		.amdhsa_system_sgpr_workgroup_id_x 1
		.amdhsa_system_sgpr_workgroup_id_y 0
		.amdhsa_system_sgpr_workgroup_id_z 0
		.amdhsa_system_sgpr_workgroup_info 0
		.amdhsa_system_vgpr_workitem_id 0
		.amdhsa_next_free_vgpr 138
		.amdhsa_next_free_sgpr 32
		.amdhsa_reserve_vcc 1
		.amdhsa_float_round_mode_32 0
		.amdhsa_float_round_mode_16_64 0
		.amdhsa_float_denorm_mode_32 3
		.amdhsa_float_denorm_mode_16_64 3
		.amdhsa_fp16_overflow 0
		.amdhsa_workgroup_processor_mode 1
		.amdhsa_memory_ordered 1
		.amdhsa_forward_progress 0
		.amdhsa_round_robin_scheduling 0
		.amdhsa_exception_fp_ieee_invalid_op 0
		.amdhsa_exception_fp_denorm_src 0
		.amdhsa_exception_fp_ieee_div_zero 0
		.amdhsa_exception_fp_ieee_overflow 0
		.amdhsa_exception_fp_ieee_underflow 0
		.amdhsa_exception_fp_ieee_inexact 0
		.amdhsa_exception_int_div_zero 0
	.end_amdhsa_kernel
	.text
.Lfunc_end0:
	.size	fft_rtc_back_len1521_factors_13_3_3_13_wgs_117_tpt_117_halfLds_sp_ip_CI_unitstride_sbrr_dirReg, .Lfunc_end0-fft_rtc_back_len1521_factors_13_3_3_13_wgs_117_tpt_117_halfLds_sp_ip_CI_unitstride_sbrr_dirReg
                                        ; -- End function
	.section	.AMDGPU.csdata,"",@progbits
; Kernel info:
; codeLenInByte = 11868
; NumSgprs: 34
; NumVgprs: 138
; ScratchSize: 0
; MemoryBound: 0
; FloatMode: 240
; IeeeMode: 1
; LDSByteSize: 0 bytes/workgroup (compile time only)
; SGPRBlocks: 4
; VGPRBlocks: 17
; NumSGPRsForWavesPerEU: 34
; NumVGPRsForWavesPerEU: 138
; Occupancy: 10
; WaveLimiterHint : 1
; COMPUTE_PGM_RSRC2:SCRATCH_EN: 0
; COMPUTE_PGM_RSRC2:USER_SGPR: 2
; COMPUTE_PGM_RSRC2:TRAP_HANDLER: 0
; COMPUTE_PGM_RSRC2:TGID_X_EN: 1
; COMPUTE_PGM_RSRC2:TGID_Y_EN: 0
; COMPUTE_PGM_RSRC2:TGID_Z_EN: 0
; COMPUTE_PGM_RSRC2:TIDIG_COMP_CNT: 0
	.text
	.p2alignl 7, 3214868480
	.fill 96, 4, 3214868480
	.type	__hip_cuid_8bc4575c12a25ab4,@object ; @__hip_cuid_8bc4575c12a25ab4
	.section	.bss,"aw",@nobits
	.globl	__hip_cuid_8bc4575c12a25ab4
__hip_cuid_8bc4575c12a25ab4:
	.byte	0                               ; 0x0
	.size	__hip_cuid_8bc4575c12a25ab4, 1

	.ident	"AMD clang version 19.0.0git (https://github.com/RadeonOpenCompute/llvm-project roc-6.4.0 25133 c7fe45cf4b819c5991fe208aaa96edf142730f1d)"
	.section	".note.GNU-stack","",@progbits
	.addrsig
	.addrsig_sym __hip_cuid_8bc4575c12a25ab4
	.amdgpu_metadata
---
amdhsa.kernels:
  - .args:
      - .actual_access:  read_only
        .address_space:  global
        .offset:         0
        .size:           8
        .value_kind:     global_buffer
      - .offset:         8
        .size:           8
        .value_kind:     by_value
      - .actual_access:  read_only
        .address_space:  global
        .offset:         16
        .size:           8
        .value_kind:     global_buffer
      - .actual_access:  read_only
        .address_space:  global
        .offset:         24
        .size:           8
        .value_kind:     global_buffer
      - .offset:         32
        .size:           8
        .value_kind:     by_value
      - .actual_access:  read_only
        .address_space:  global
        .offset:         40
        .size:           8
        .value_kind:     global_buffer
      - .actual_access:  read_only
        .address_space:  global
        .offset:         48
        .size:           8
        .value_kind:     global_buffer
      - .offset:         56
        .size:           4
        .value_kind:     by_value
      - .actual_access:  read_only
        .address_space:  global
        .offset:         64
        .size:           8
        .value_kind:     global_buffer
      - .actual_access:  read_only
        .address_space:  global
        .offset:         72
        .size:           8
        .value_kind:     global_buffer
      - .address_space:  global
        .offset:         80
        .size:           8
        .value_kind:     global_buffer
    .group_segment_fixed_size: 0
    .kernarg_segment_align: 8
    .kernarg_segment_size: 88
    .language:       OpenCL C
    .language_version:
      - 2
      - 0
    .max_flat_workgroup_size: 117
    .name:           fft_rtc_back_len1521_factors_13_3_3_13_wgs_117_tpt_117_halfLds_sp_ip_CI_unitstride_sbrr_dirReg
    .private_segment_fixed_size: 0
    .sgpr_count:     34
    .sgpr_spill_count: 0
    .symbol:         fft_rtc_back_len1521_factors_13_3_3_13_wgs_117_tpt_117_halfLds_sp_ip_CI_unitstride_sbrr_dirReg.kd
    .uniform_work_group_size: 1
    .uses_dynamic_stack: false
    .vgpr_count:     138
    .vgpr_spill_count: 0
    .wavefront_size: 32
    .workgroup_processor_mode: 1
amdhsa.target:   amdgcn-amd-amdhsa--gfx1201
amdhsa.version:
  - 1
  - 2
...

	.end_amdgpu_metadata
